;; amdgpu-corpus repo=ROCm/rocFFT kind=compiled arch=gfx1201 opt=O3
	.text
	.amdgcn_target "amdgcn-amd-amdhsa--gfx1201"
	.amdhsa_code_object_version 6
	.protected	bluestein_single_fwd_len1500_dim1_dp_op_CI_CI ; -- Begin function bluestein_single_fwd_len1500_dim1_dp_op_CI_CI
	.globl	bluestein_single_fwd_len1500_dim1_dp_op_CI_CI
	.p2align	8
	.type	bluestein_single_fwd_len1500_dim1_dp_op_CI_CI,@function
bluestein_single_fwd_len1500_dim1_dp_op_CI_CI: ; @bluestein_single_fwd_len1500_dim1_dp_op_CI_CI
; %bb.0:
	s_load_b128 s[16:19], s[0:1], 0x28
	v_mul_u32_u24_e32 v1, 0x1b5, v0
	s_mov_b32 s2, exec_lo
	v_mov_b32_e32 v193, 0
	s_delay_alu instid0(VALU_DEP_2) | instskip(NEXT) | instid1(VALU_DEP_1)
	v_lshrrev_b32_e32 v1, 16, v1
	v_add_nc_u32_e32 v192, ttmp9, v1
	s_wait_kmcnt 0x0
	s_delay_alu instid0(VALU_DEP_1)
	v_cmpx_gt_u64_e64 s[16:17], v[192:193]
	s_cbranch_execz .LBB0_10
; %bb.1:
	s_clause 0x1
	s_load_b128 s[4:7], s[0:1], 0x18
	s_load_b128 s[8:11], s[0:1], 0x0
	v_mul_lo_u16 v1, 0x96, v1
	s_mov_b32 s16, 0x4755a5e
	s_mov_b32 s17, 0x3fe2cf23
	;; [unrolled: 1-line block ×4, first 2 shown]
	v_sub_nc_u16 v40, v0, v1
	s_delay_alu instid0(VALU_DEP_1) | instskip(NEXT) | instid1(VALU_DEP_1)
	v_and_b32_e32 v195, 0xffff, v40
	v_lshlrev_b32_e32 v196, 4, v195
	s_wait_kmcnt 0x0
	s_load_b128 s[12:15], s[4:5], 0x0
	s_wait_kmcnt 0x0
	v_mad_co_u64_u32 v[0:1], null, s14, v192, 0
	v_mad_co_u64_u32 v[2:3], null, s12, v195, 0
	s_mul_i32 s4, s13, 0xffffbe60
	s_mul_u64 s[2:3], s[12:13], 0x12c0
	s_sub_co_i32 s4, s4, s12
	s_mov_b32 s14, s16
	s_delay_alu instid0(VALU_DEP_1) | instskip(SKIP_1) | instid1(VALU_DEP_1)
	v_mad_co_u64_u32 v[4:5], null, s15, v192, v[1:2]
	s_mov_b32 s15, 0xbfe2cf23
	v_mad_co_u64_u32 v[5:6], null, s13, v195, v[3:4]
	v_mov_b32_e32 v1, v4
	s_delay_alu instid0(VALU_DEP_1) | instskip(NEXT) | instid1(VALU_DEP_3)
	v_lshlrev_b64_e32 v[0:1], 4, v[0:1]
	v_mov_b32_e32 v3, v5
	s_delay_alu instid0(VALU_DEP_2) | instskip(NEXT) | instid1(VALU_DEP_2)
	v_add_co_u32 v0, vcc_lo, s18, v0
	v_lshlrev_b64_e32 v[2:3], 4, v[2:3]
	s_delay_alu instid0(VALU_DEP_4) | instskip(SKIP_2) | instid1(VALU_DEP_2)
	v_add_co_ci_u32_e32 v1, vcc_lo, s19, v1, vcc_lo
	s_mov_b32 s18, 0x372fe950
	s_mov_b32 s19, 0x3fd3c6ef
	v_add_co_u32 v32, vcc_lo, v0, v2
	s_wait_alu 0xfffd
	v_add_co_ci_u32_e32 v33, vcc_lo, v1, v3, vcc_lo
	global_load_b128 v[0:3], v196, s[8:9] offset:14400
	v_add_co_u32 v34, vcc_lo, v32, s2
	s_wait_alu 0xfffd
	v_add_co_ci_u32_e32 v35, vcc_lo, s3, v33, vcc_lo
	s_clause 0x2
	global_load_b128 v[4:7], v196, s[8:9] offset:19200
	global_load_b128 v[8:11], v196, s[8:9]
	global_load_b128 v[12:15], v196, s[8:9] offset:2400
	v_add_co_u32 v36, vcc_lo, v34, s2
	s_wait_alu 0xfffd
	v_add_co_ci_u32_e32 v37, vcc_lo, s3, v35, vcc_lo
	s_clause 0x1
	global_load_b128 v[16:19], v196, s[8:9] offset:4800
	global_load_b128 v[20:23], v196, s[8:9] offset:7200
	v_add_co_u32 v38, vcc_lo, v36, s2
	s_wait_alu 0xfffd
	v_add_co_ci_u32_e32 v39, vcc_lo, s3, v37, vcc_lo
	s_clause 0x1
	global_load_b128 v[24:27], v196, s[8:9] offset:9600
	global_load_b128 v[28:31], v196, s[8:9] offset:12000
	v_add_co_u32 v57, vcc_lo, v38, s2
	s_wait_alu 0xfffd
	v_add_co_ci_u32_e32 v58, vcc_lo, s3, v39, vcc_lo
	s_clause 0x3
	global_load_b128 v[41:44], v[32:33], off
	global_load_b128 v[45:48], v[34:35], off
	;; [unrolled: 1-line block ×4, first 2 shown]
	v_mad_co_u64_u32 v[61:62], null, 0xffffbe60, s12, v[57:58]
	global_load_b128 v[57:60], v[57:58], off
	s_mov_b32 s12, 0x134454ff
	s_mov_b32 s13, 0x3fee6f0e
	v_add_nc_u32_e32 v62, s4, v62
	v_add_co_u32 v32, vcc_lo, v61, s2
	s_wait_alu 0xfffd
	s_delay_alu instid0(VALU_DEP_2) | instskip(NEXT) | instid1(VALU_DEP_2)
	v_add_co_ci_u32_e32 v33, vcc_lo, s3, v62, vcc_lo
	v_add_co_u32 v34, vcc_lo, v32, s2
	global_load_b128 v[61:64], v[61:62], off
	s_wait_alu 0xfffd
	v_add_co_ci_u32_e32 v35, vcc_lo, s3, v33, vcc_lo
	v_add_co_u32 v36, vcc_lo, v34, s2
	global_load_b128 v[65:68], v[32:33], off
	s_wait_alu 0xfffd
	v_add_co_ci_u32_e32 v37, vcc_lo, s3, v35, vcc_lo
	v_add_co_u32 v77, vcc_lo, v36, s2
	s_wait_alu 0xfffe
	s_mov_b32 s2, s12
	s_wait_alu 0xfffd
	v_add_co_ci_u32_e32 v78, vcc_lo, s3, v37, vcc_lo
	global_load_b128 v[69:72], v[34:35], off
	global_load_b128 v[32:35], v196, s[8:9] offset:16800
	global_load_b128 v[73:76], v[36:37], off
	global_load_b128 v[36:39], v196, s[8:9] offset:21600
	global_load_b128 v[77:80], v[77:78], off
	s_load_b128 s[4:7], s[6:7], 0x0
	s_mov_b32 s3, 0xbfee6f0e
	v_cmp_gt_u16_e32 vcc_lo, 50, v40
	s_wait_loadcnt 0xb
	v_mul_f64_e32 v[81:82], v[43:44], v[10:11]
	v_mul_f64_e32 v[83:84], v[41:42], v[10:11]
	s_wait_loadcnt 0xa
	v_mul_f64_e32 v[85:86], v[47:48], v[18:19]
	v_mul_f64_e32 v[87:88], v[45:46], v[18:19]
	;; [unrolled: 3-line block ×10, first 2 shown]
	v_fma_f64 v[41:42], v[41:42], v[8:9], v[81:82]
	v_fma_f64 v[43:44], v[43:44], v[8:9], -v[83:84]
	v_fma_f64 v[45:46], v[45:46], v[16:17], v[85:86]
	v_fma_f64 v[47:48], v[47:48], v[16:17], -v[87:88]
	v_fma_f64 v[49:50], v[49:50], v[24:25], v[89:90]
	v_fma_f64 v[51:52], v[51:52], v[24:25], -v[91:92]
	v_fma_f64 v[53:54], v[53:54], v[0:1], v[93:94]
	v_fma_f64 v[55:56], v[55:56], v[0:1], -v[95:96]
	v_fma_f64 v[57:58], v[57:58], v[4:5], v[97:98]
	v_fma_f64 v[59:60], v[59:60], v[4:5], -v[99:100]
	v_fma_f64 v[61:62], v[61:62], v[12:13], v[101:102]
	v_fma_f64 v[63:64], v[63:64], v[12:13], -v[103:104]
	v_fma_f64 v[65:66], v[65:66], v[20:21], v[105:106]
	v_fma_f64 v[67:68], v[67:68], v[20:21], -v[107:108]
	v_fma_f64 v[69:70], v[69:70], v[28:29], v[109:110]
	v_fma_f64 v[71:72], v[71:72], v[28:29], -v[111:112]
	v_fma_f64 v[73:74], v[73:74], v[32:33], v[113:114]
	v_fma_f64 v[75:76], v[75:76], v[32:33], -v[115:116]
	v_fma_f64 v[77:78], v[77:78], v[36:37], v[117:118]
	v_fma_f64 v[79:80], v[79:80], v[36:37], -v[119:120]
	ds_store_b128 v196, v[41:44]
	ds_store_b128 v196, v[61:64] offset:2400
	ds_store_b128 v196, v[45:48] offset:4800
	;; [unrolled: 1-line block ×9, first 2 shown]
	global_wb scope:SCOPE_SE
	s_wait_dscnt 0x0
	s_wait_kmcnt 0x0
	s_barrier_signal -1
	s_barrier_wait -1
	global_inv scope:SCOPE_SE
	ds_load_b128 v[41:44], v196 offset:14400
	ds_load_b128 v[45:48], v196 offset:9600
	ds_load_b128 v[49:52], v196 offset:4800
	ds_load_b128 v[53:56], v196 offset:19200
	ds_load_b128 v[57:60], v196 offset:12000
	ds_load_b128 v[61:64], v196 offset:16800
	ds_load_b128 v[65:68], v196 offset:7200
	ds_load_b128 v[69:72], v196 offset:21600
	ds_load_b128 v[73:76], v196
	ds_load_b128 v[77:80], v196 offset:2400
	global_wb scope:SCOPE_SE
	s_wait_dscnt 0x0
	s_barrier_signal -1
	s_barrier_wait -1
	global_inv scope:SCOPE_SE
	v_add_f64_e32 v[81:82], v[45:46], v[41:42]
	v_add_f64_e32 v[85:86], v[47:48], v[43:44]
	;; [unrolled: 1-line block ×10, first 2 shown]
	v_add_f64_e64 v[99:100], v[51:52], -v[55:56]
	v_add_f64_e32 v[105:106], v[77:78], v[65:66]
	v_add_f64_e64 v[109:110], v[49:50], -v[53:54]
	v_add_f64_e64 v[101:102], v[47:48], -v[43:44]
	v_add_f64_e32 v[107:108], v[79:80], v[67:68]
	v_add_f64_e64 v[111:112], v[67:68], -v[71:72]
	v_add_f64_e64 v[113:114], v[65:66], -v[69:70]
	;; [unrolled: 1-line block ×16, first 2 shown]
	v_fma_f64 v[81:82], v[81:82], -0.5, v[73:74]
	v_fma_f64 v[85:86], v[85:86], -0.5, v[75:76]
	;; [unrolled: 1-line block ×3, first 2 shown]
	v_add_f64_e64 v[83:84], v[45:46], -v[41:42]
	v_fma_f64 v[75:76], v[87:88], -0.5, v[75:76]
	v_fma_f64 v[89:90], v[89:90], -0.5, v[77:78]
	;; [unrolled: 1-line block ×3, first 2 shown]
	v_add_f64_e64 v[87:88], v[59:60], -v[63:64]
	v_fma_f64 v[77:78], v[91:92], -0.5, v[77:78]
	v_add_f64_e64 v[91:92], v[57:58], -v[61:62]
	v_fma_f64 v[79:80], v[95:96], -0.5, v[79:80]
	v_add_f64_e64 v[95:96], v[49:50], -v[45:46]
	v_add_f64_e64 v[49:50], v[45:46], -v[49:50]
	v_add_f64_e32 v[45:46], v[97:98], v[45:46]
	v_add_f64_e32 v[47:48], v[103:104], v[47:48]
	;; [unrolled: 1-line block ×4, first 2 shown]
	v_fma_f64 v[97:98], v[99:100], s[12:13], v[81:82]
	s_wait_alu 0xfffe
	v_fma_f64 v[105:106], v[109:110], s[2:3], v[85:86]
	v_fma_f64 v[81:82], v[99:100], s[2:3], v[81:82]
	v_fma_f64 v[103:104], v[101:102], s[2:3], v[73:74]
	v_fma_f64 v[73:74], v[101:102], s[12:13], v[73:74]
	v_fma_f64 v[107:108], v[83:84], s[12:13], v[75:76]
	v_fma_f64 v[75:76], v[83:84], s[2:3], v[75:76]
	v_fma_f64 v[85:86], v[109:110], s[12:13], v[85:86]
	v_fma_f64 v[137:138], v[111:112], s[12:13], v[89:90]
	v_fma_f64 v[141:142], v[113:114], s[2:3], v[93:94]
	v_fma_f64 v[89:90], v[111:112], s[2:3], v[89:90]
	v_fma_f64 v[139:140], v[87:88], s[2:3], v[77:78]
	v_fma_f64 v[143:144], v[91:92], s[12:13], v[79:80]
	v_fma_f64 v[77:78], v[87:88], s[12:13], v[77:78]
	v_fma_f64 v[79:80], v[91:92], s[2:3], v[79:80]
	v_fma_f64 v[93:94], v[113:114], s[12:13], v[93:94]
	v_add_f64_e32 v[45:46], v[45:46], v[41:42]
	v_add_f64_e32 v[43:44], v[47:48], v[43:44]
	;; [unrolled: 1-line block ×12, first 2 shown]
	v_and_b32_e32 v42, 0xff, v40
	s_delay_alu instid0(VALU_DEP_1)
	v_mul_lo_u16 v41, 0xcd, v42
	v_mul_lo_u16 v42, v42, 41
	v_fma_f64 v[57:58], v[101:102], s[16:17], v[97:98]
	v_fma_f64 v[67:68], v[83:84], s[14:15], v[105:106]
	;; [unrolled: 1-line block ×16, first 2 shown]
	v_add_f64_e32 v[45:46], v[45:46], v[53:54]
	v_add_f64_e32 v[47:48], v[43:44], v[55:56]
	v_lshrrev_b16 v43, 10, v41
	v_add_co_u32 v41, null, 0x96, v195
	v_lshrrev_b16 v42, 11, v42
	v_add_f64_e32 v[49:50], v[49:50], v[69:70]
	s_delay_alu instid0(VALU_DEP_4) | instskip(SKIP_2) | instid1(VALU_DEP_3)
	v_mul_lo_u16 v44, v43, 5
	v_add_f64_e32 v[51:52], v[51:52], v[71:72]
	v_and_b32_e32 v43, 0xffff, v43
	v_sub_nc_u16 v44, v40, v44
	s_delay_alu instid0(VALU_DEP_1)
	v_and_b32_e32 v44, 0xff, v44
	v_fma_f64 v[53:54], v[95:96], s[18:19], v[57:58]
	v_fma_f64 v[55:56], v[117:118], s[18:19], v[67:68]
	;; [unrolled: 1-line block ×16, first 2 shown]
	v_mul_lo_u16 v85, v40, 5
	v_mad_co_u64_u32 v[92:93], null, 0x90, v44, s[10:11]
	v_mul_u32_u24_e32 v86, 5, v41
	s_delay_alu instid0(VALU_DEP_3) | instskip(NEXT) | instid1(VALU_DEP_2)
	v_and_b32_e32 v85, 0xffff, v85
	v_lshlrev_b32_e32 v199, 4, v86
	s_delay_alu instid0(VALU_DEP_2)
	v_lshlrev_b32_e32 v200, 4, v85
	ds_store_b128 v200, v[45:48]
	ds_store_b128 v200, v[53:56] offset:16
	ds_store_b128 v200, v[61:64] offset:32
	;; [unrolled: 1-line block ×4, first 2 shown]
	ds_store_b128 v199, v[49:52]
	ds_store_b128 v199, v[69:72] offset:16
	ds_store_b128 v199, v[77:80] offset:32
	;; [unrolled: 1-line block ×4, first 2 shown]
	global_wb scope:SCOPE_SE
	s_wait_dscnt 0x0
	s_barrier_signal -1
	s_barrier_wait -1
	global_inv scope:SCOPE_SE
	s_clause 0x8
	global_load_b128 v[116:119], v[92:93], off offset:32
	global_load_b128 v[88:91], v[92:93], off offset:64
	;; [unrolled: 1-line block ×4, first 2 shown]
	global_load_b128 v[68:71], v[92:93], off
	global_load_b128 v[104:107], v[92:93], off offset:16
	global_load_b128 v[100:103], v[92:93], off offset:48
	;; [unrolled: 1-line block ×4, first 2 shown]
	ds_load_b128 v[45:48], v196 offset:7200
	ds_load_b128 v[49:52], v196 offset:12000
	;; [unrolled: 1-line block ×9, first 2 shown]
	ds_load_b128 v[120:123], v196
	global_wb scope:SCOPE_SE
	s_wait_loadcnt_dscnt 0x0
	s_barrier_signal -1
	s_barrier_wait -1
	global_inv scope:SCOPE_SE
	v_mul_f64_e32 v[124:125], v[45:46], v[118:119]
	v_mul_f64_e32 v[126:127], v[51:52], v[90:91]
	;; [unrolled: 1-line block ×10, first 2 shown]
	v_fma_f64 v[47:48], v[47:48], v[116:117], v[124:125]
	v_fma_f64 v[49:50], v[49:50], v[88:89], -v[126:127]
	v_fma_f64 v[51:52], v[51:52], v[88:89], v[128:129]
	v_fma_f64 v[55:56], v[55:56], v[84:85], v[130:131]
	;; [unrolled: 1-line block ×3, first 2 shown]
	v_fma_f64 v[53:54], v[53:54], v[84:85], -v[136:137]
	v_fma_f64 v[45:46], v[45:46], v[116:117], -v[65:66]
	;; [unrolled: 1-line block ×3, first 2 shown]
	v_mul_f64_e32 v[65:66], v[63:64], v[106:107]
	v_mul_f64_e32 v[124:125], v[61:62], v[106:107]
	;; [unrolled: 1-line block ×8, first 2 shown]
	v_fma_f64 v[112:113], v[112:113], v[68:69], -v[138:139]
	v_fma_f64 v[114:115], v[114:115], v[68:69], v[140:141]
	v_add_f64_e64 v[154:155], v[47:48], -v[51:52]
	v_add_f64_e32 v[138:139], v[51:52], v[55:56]
	v_add_f64_e32 v[140:141], v[47:48], v[59:60]
	;; [unrolled: 1-line block ×3, first 2 shown]
	v_add_f64_e64 v[146:147], v[45:46], -v[49:50]
	v_add_f64_e32 v[142:143], v[45:46], v[57:58]
	v_fma_f64 v[61:62], v[61:62], v[104:105], -v[65:66]
	v_fma_f64 v[63:64], v[63:64], v[104:105], v[124:125]
	v_fma_f64 v[65:66], v[72:73], v[100:101], -v[126:127]
	v_fma_f64 v[72:73], v[74:75], v[100:101], v[128:129]
	v_fma_f64 v[74:75], v[76:77], v[96:97], -v[130:131]
	v_fma_f64 v[76:77], v[80:81], v[92:93], -v[132:133]
	v_fma_f64 v[78:79], v[78:79], v[96:97], v[134:135]
	v_fma_f64 v[80:81], v[82:83], v[92:93], v[136:137]
	v_add_f64_e64 v[82:83], v[47:48], -v[59:60]
	v_add_f64_e64 v[126:127], v[45:46], -v[57:58]
	;; [unrolled: 1-line block ×10, first 2 shown]
	v_add_f64_e32 v[45:46], v[112:113], v[45:46]
	v_add_f64_e32 v[47:48], v[114:115], v[47:48]
	v_fma_f64 v[130:131], v[138:139], -0.5, v[114:115]
	v_fma_f64 v[132:133], v[140:141], -0.5, v[114:115]
	;; [unrolled: 1-line block ×4, first 2 shown]
	v_add_f64_e32 v[170:171], v[120:121], v[61:62]
	v_add_f64_e32 v[176:177], v[122:123], v[63:64]
	;; [unrolled: 1-line block ×6, first 2 shown]
	v_add_f64_e64 v[172:173], v[63:64], -v[80:81]
	v_add_f64_e64 v[174:175], v[72:73], -v[78:79]
	;; [unrolled: 1-line block ×4, first 2 shown]
	v_add_f64_e32 v[45:46], v[45:46], v[49:50]
	v_add_f64_e32 v[47:48], v[47:48], v[51:52]
	v_fma_f64 v[162:163], v[126:127], s[2:3], v[130:131]
	v_fma_f64 v[164:165], v[128:129], s[12:13], v[132:133]
	;; [unrolled: 1-line block ×8, first 2 shown]
	v_fma_f64 v[112:113], v[138:139], -0.5, v[120:121]
	v_fma_f64 v[114:115], v[140:141], -0.5, v[120:121]
	;; [unrolled: 1-line block ×4, first 2 shown]
	v_add_f64_e32 v[138:139], v[146:147], v[148:149]
	v_add_f64_e32 v[140:141], v[150:151], v[152:153]
	v_add_f64_e32 v[142:143], v[154:155], v[156:157]
	v_add_f64_e32 v[144:145], v[158:159], v[160:161]
	v_add_f64_e64 v[154:155], v[80:81], -v[78:79]
	v_add_f64_e64 v[156:157], v[78:79], -v[80:81]
	v_add_f64_e32 v[45:46], v[45:46], v[53:54]
	v_add_f64_e32 v[47:48], v[47:48], v[55:56]
	v_fma_f64 v[146:147], v[128:129], s[14:15], v[162:163]
	v_fma_f64 v[148:149], v[126:127], s[14:15], v[164:165]
	;; [unrolled: 1-line block ×8, first 2 shown]
	v_add_f64_e64 v[130:131], v[61:62], -v[65:66]
	v_add_f64_e64 v[61:62], v[65:66], -v[61:62]
	;; [unrolled: 1-line block ×4, first 2 shown]
	v_add_f64_e32 v[65:66], v[170:171], v[65:66]
	v_add_f64_e32 v[72:73], v[176:177], v[72:73]
	v_add_f64_e64 v[132:133], v[76:77], -v[74:75]
	v_fma_f64 v[49:50], v[172:173], s[12:13], v[112:113]
	v_fma_f64 v[51:52], v[172:173], s[2:3], v[112:113]
	;; [unrolled: 1-line block ×8, first 2 shown]
	v_add_f64_e64 v[134:135], v[74:75], -v[76:77]
	v_add_f64_e32 v[57:58], v[45:46], v[57:58]
	v_add_f64_e32 v[59:60], v[47:48], v[59:60]
	v_fma_f64 v[146:147], v[142:143], s[18:19], v[146:147]
	v_fma_f64 v[148:149], v[144:145], s[18:19], v[148:149]
	;; [unrolled: 1-line block ×8, first 2 shown]
	v_add_f64_e32 v[63:64], v[63:64], v[156:157]
	v_add_f64_e32 v[65:66], v[65:66], v[74:75]
	;; [unrolled: 1-line block ×5, first 2 shown]
	v_fma_f64 v[49:50], v[174:175], s[16:17], v[49:50]
	v_fma_f64 v[53:54], v[172:173], s[16:17], v[112:113]
	;; [unrolled: 1-line block ×7, first 2 shown]
	v_add_f64_e32 v[61:62], v[61:62], v[134:135]
	v_fma_f64 v[51:52], v[174:175], s[14:15], v[51:52]
	v_mul_f64_e32 v[120:121], s[16:17], v[146:147]
	v_mul_f64_e32 v[122:123], s[12:13], v[148:149]
	;; [unrolled: 1-line block ×8, first 2 shown]
	v_add_f64_e32 v[65:66], v[65:66], v[76:77]
	v_add_f64_e32 v[72:73], v[72:73], v[80:81]
	v_fma_f64 v[76:77], v[130:131], s[18:19], v[49:50]
	v_fma_f64 v[156:157], v[132:133], s[18:19], v[74:75]
	;; [unrolled: 1-line block ×10, first 2 shown]
	v_fma_f64 v[120:121], v[128:129], s[16:17], -v[136:137]
	v_fma_f64 v[122:123], v[146:147], s[20:21], v[138:139]
	v_fma_f64 v[112:113], v[126:127], s[12:13], -v[134:135]
	v_fma_f64 v[124:125], v[148:149], s[18:19], v[140:141]
	v_fma_f64 v[126:127], v[150:151], s[2:3], -v[142:143]
	v_fma_f64 v[128:129], v[152:153], s[14:15], -v[144:145]
	v_add_f64_e32 v[45:46], v[65:66], v[57:58]
	v_add_f64_e32 v[47:48], v[72:73], v[59:60]
	v_add_f64_e64 v[49:50], v[65:66], -v[57:58]
	v_add_f64_e64 v[51:52], v[72:73], -v[59:60]
	v_mul_lo_u16 v65, v42, 50
	v_mul_u32_u24_e32 v66, 50, v43
	v_and_b32_e32 v42, 0xffff, v42
	s_delay_alu instid0(VALU_DEP_3) | instskip(NEXT) | instid1(VALU_DEP_3)
	v_sub_nc_u16 v65, v40, v65
	v_add_lshl_u32 v198, v66, v44, 4
	s_delay_alu instid0(VALU_DEP_3) | instskip(NEXT) | instid1(VALU_DEP_3)
	v_mul_u32_u24_e32 v42, 0x1f4, v42
	v_and_b32_e32 v43, 0xff, v65
	s_delay_alu instid0(VALU_DEP_1)
	v_add_lshl_u32 v197, v42, v43, 4
	v_add_f64_e32 v[53:54], v[76:77], v[78:79]
	v_add_f64_e32 v[57:58], v[80:81], v[82:83]
	;; [unrolled: 1-line block ×8, first 2 shown]
	v_add_f64_e64 v[76:77], v[76:77], -v[78:79]
	v_add_f64_e64 v[78:79], v[156:157], -v[122:123]
	;; [unrolled: 1-line block ×8, first 2 shown]
	v_mad_co_u64_u32 v[124:125], null, 0x90, v43, s[10:11]
	ds_store_b128 v198, v[45:48]
	ds_store_b128 v198, v[53:56] offset:80
	ds_store_b128 v198, v[57:60] offset:160
	;; [unrolled: 1-line block ×9, first 2 shown]
	global_wb scope:SCOPE_SE
	s_wait_dscnt 0x0
	s_barrier_signal -1
	s_barrier_wait -1
	global_inv scope:SCOPE_SE
	s_clause 0x8
	global_load_b128 v[112:115], v[124:125], off offset:752
	global_load_b128 v[56:59], v[124:125], off offset:784
	;; [unrolled: 1-line block ×9, first 2 shown]
	ds_load_b128 v[44:47], v196 offset:7200
	ds_load_b128 v[120:123], v196 offset:12000
	ds_load_b128 v[124:127], v196 offset:16800
	ds_load_b128 v[128:131], v196 offset:21600
	ds_load_b128 v[132:135], v196 offset:4800
	ds_load_b128 v[136:139], v196 offset:9600
	ds_load_b128 v[140:143], v196 offset:14400
	ds_load_b128 v[144:147], v196 offset:19200
	ds_load_b128 v[148:151], v196 offset:2400
	ds_load_b128 v[152:155], v196
	global_wb scope:SCOPE_SE
	s_wait_loadcnt_dscnt 0x0
	s_barrier_signal -1
	s_barrier_wait -1
	global_inv scope:SCOPE_SE
	v_mul_f64_e32 v[158:159], v[44:45], v[114:115]
	v_mul_f64_e32 v[160:161], v[122:123], v[58:59]
	;; [unrolled: 1-line block ×10, first 2 shown]
	v_fma_f64 v[46:47], v[46:47], v[112:113], v[158:159]
	v_fma_f64 v[120:121], v[120:121], v[56:57], -v[160:161]
	v_fma_f64 v[122:123], v[122:123], v[56:57], v[162:163]
	v_fma_f64 v[126:127], v[126:127], v[52:53], v[164:165]
	v_fma_f64 v[130:131], v[130:131], v[80:81], v[166:167]
	v_fma_f64 v[124:125], v[124:125], v[52:53], -v[170:171]
	v_fma_f64 v[44:45], v[44:45], v[112:113], -v[156:157]
	;; [unrolled: 1-line block ×3, first 2 shown]
	v_mul_f64_e32 v[156:157], v[134:135], v[78:79]
	v_mul_f64_e32 v[158:159], v[132:133], v[78:79]
	;; [unrolled: 1-line block ×8, first 2 shown]
	v_fma_f64 v[148:149], v[148:149], v[48:49], -v[172:173]
	v_fma_f64 v[150:151], v[150:151], v[48:49], v[174:175]
	v_add_f64_e64 v[188:189], v[46:47], -v[122:123]
	v_add_f64_e32 v[172:173], v[122:123], v[126:127]
	v_add_f64_e32 v[174:175], v[46:47], v[130:131]
	;; [unrolled: 1-line block ×3, first 2 shown]
	v_add_f64_e64 v[180:181], v[44:45], -v[120:121]
	v_add_f64_e32 v[176:177], v[44:45], v[128:129]
	v_fma_f64 v[132:133], v[132:133], v[76:77], -v[156:157]
	v_fma_f64 v[134:135], v[134:135], v[76:77], v[158:159]
	v_fma_f64 v[136:137], v[136:137], v[72:73], -v[160:161]
	v_fma_f64 v[138:139], v[138:139], v[72:73], v[162:163]
	v_fma_f64 v[140:141], v[140:141], v[64:65], -v[164:165]
	v_fma_f64 v[144:145], v[144:145], v[60:61], -v[166:167]
	v_fma_f64 v[142:143], v[142:143], v[64:65], v[168:169]
	v_fma_f64 v[146:147], v[146:147], v[60:61], v[170:171]
	v_add_f64_e64 v[156:157], v[46:47], -v[130:131]
	v_add_f64_e64 v[160:161], v[44:45], -v[128:129]
	;; [unrolled: 1-line block ×10, first 2 shown]
	v_add_f64_e32 v[44:45], v[148:149], v[44:45]
	v_add_f64_e32 v[46:47], v[150:151], v[46:47]
	v_fma_f64 v[164:165], v[172:173], -0.5, v[150:151]
	v_fma_f64 v[166:167], v[174:175], -0.5, v[150:151]
	;; [unrolled: 1-line block ×4, first 2 shown]
	v_add_f64_e32 v[148:149], v[152:153], v[132:133]
	v_add_f64_e32 v[150:151], v[154:155], v[134:135]
	;; [unrolled: 1-line block ×6, first 2 shown]
	v_add_f64_e64 v[211:212], v[134:135], -v[146:147]
	v_add_f64_e64 v[213:214], v[138:139], -v[142:143]
	;; [unrolled: 1-line block ×4, first 2 shown]
	v_add_f64_e32 v[44:45], v[44:45], v[120:121]
	v_add_f64_e32 v[46:47], v[46:47], v[122:123]
	v_fma_f64 v[203:204], v[160:161], s[2:3], v[164:165]
	v_fma_f64 v[205:206], v[162:163], s[12:13], v[166:167]
	;; [unrolled: 1-line block ×8, first 2 shown]
	v_fma_f64 v[172:173], v[172:173], -0.5, v[152:153]
	v_fma_f64 v[152:153], v[174:175], -0.5, v[152:153]
	;; [unrolled: 1-line block ×4, first 2 shown]
	v_add_f64_e32 v[176:177], v[180:181], v[182:183]
	v_add_f64_e32 v[178:179], v[184:185], v[186:187]
	;; [unrolled: 1-line block ×4, first 2 shown]
	v_add_f64_e64 v[193:194], v[146:147], -v[142:143]
	v_add_f64_e64 v[201:202], v[142:143], -v[146:147]
	v_add_f64_e32 v[44:45], v[44:45], v[124:125]
	v_add_f64_e32 v[46:47], v[46:47], v[126:127]
	v_fma_f64 v[184:185], v[162:163], s[14:15], v[203:204]
	v_fma_f64 v[186:187], v[160:161], s[14:15], v[205:206]
	;; [unrolled: 1-line block ×8, first 2 shown]
	v_add_f64_e64 v[164:165], v[132:133], -v[136:137]
	v_add_f64_e64 v[132:133], v[136:137], -v[132:133]
	;; [unrolled: 1-line block ×4, first 2 shown]
	v_add_f64_e32 v[136:137], v[148:149], v[136:137]
	v_add_f64_e32 v[138:139], v[150:151], v[138:139]
	v_add_f64_e64 v[166:167], v[144:145], -v[140:141]
	v_fma_f64 v[120:121], v[211:212], s[12:13], v[172:173]
	v_fma_f64 v[122:123], v[211:212], s[2:3], v[172:173]
	;; [unrolled: 1-line block ×8, first 2 shown]
	v_add_f64_e64 v[168:169], v[140:141], -v[144:145]
	v_add_f64_e32 v[128:129], v[44:45], v[128:129]
	v_add_f64_e32 v[130:131], v[46:47], v[130:131]
	v_fma_f64 v[184:185], v[180:181], s[18:19], v[184:185]
	v_fma_f64 v[186:187], v[182:183], s[18:19], v[186:187]
	;; [unrolled: 1-line block ×8, first 2 shown]
	v_add_f64_e32 v[134:135], v[134:135], v[201:202]
	v_add_f64_e32 v[136:137], v[136:137], v[140:141]
	;; [unrolled: 1-line block ×5, first 2 shown]
	v_fma_f64 v[120:121], v[213:214], s[16:17], v[120:121]
	v_fma_f64 v[122:123], v[213:214], s[14:15], v[122:123]
	;; [unrolled: 1-line block ×7, first 2 shown]
	v_add_f64_e32 v[132:133], v[132:133], v[168:169]
	v_fma_f64 v[148:149], v[215:216], s[14:15], v[174:175]
	v_mul_f64_e32 v[152:153], s[16:17], v[184:185]
	v_mul_f64_e32 v[154:155], s[12:13], v[186:187]
	;; [unrolled: 1-line block ×8, first 2 shown]
	v_add_f64_e32 v[136:137], v[136:137], v[144:145]
	v_add_f64_e32 v[138:139], v[138:139], v[146:147]
	v_fma_f64 v[144:145], v[164:165], s[18:19], v[120:121]
	v_fma_f64 v[146:147], v[164:165], s[18:19], v[122:123]
	;; [unrolled: 1-line block ×10, first 2 shown]
	v_fma_f64 v[152:153], v[162:163], s[16:17], -v[170:171]
	v_fma_f64 v[154:155], v[184:185], s[20:21], v[172:173]
	v_fma_f64 v[148:149], v[160:161], s[12:13], -v[168:169]
	v_fma_f64 v[156:157], v[186:187], s[18:19], v[174:175]
	v_fma_f64 v[158:159], v[188:189], s[2:3], -v[176:177]
	v_fma_f64 v[160:161], v[190:191], s[14:15], -v[178:179]
	s_load_b64 s[2:3], s[0:1], 0x38
                                        ; implicit-def: $vgpr184_vgpr185
                                        ; implicit-def: $vgpr188_vgpr189
	v_add_f64_e32 v[44:45], v[136:137], v[128:129]
	v_add_f64_e32 v[46:47], v[138:139], v[130:131]
	v_add_f64_e64 v[120:121], v[136:137], -v[128:129]
	v_add_f64_e64 v[122:123], v[138:139], -v[130:131]
	v_add_f64_e32 v[124:125], v[144:145], v[140:141]
	v_add_f64_e32 v[128:129], v[164:165], v[142:143]
	;; [unrolled: 1-line block ×8, first 2 shown]
	v_add_f64_e64 v[140:141], v[144:145], -v[140:141]
	v_add_f64_e64 v[144:145], v[164:165], -v[142:143]
	;; [unrolled: 1-line block ×8, first 2 shown]
	ds_store_b128 v197, v[44:47]
	ds_store_b128 v197, v[124:127] offset:800
	ds_store_b128 v197, v[128:131] offset:1600
	;; [unrolled: 1-line block ×9, first 2 shown]
	global_wb scope:SCOPE_SE
	s_wait_dscnt 0x0
	s_wait_kmcnt 0x0
	s_barrier_signal -1
	s_barrier_wait -1
	global_inv scope:SCOPE_SE
	ds_load_b128 v[148:151], v196
	ds_load_b128 v[144:147], v196 offset:2400
	ds_load_b128 v[172:175], v196 offset:16000
	ds_load_b128 v[160:163], v196 offset:18400
	ds_load_b128 v[180:183], v196 offset:8000
	ds_load_b128 v[156:159], v196 offset:4800
	ds_load_b128 v[176:179], v196 offset:10400
	ds_load_b128 v[164:167], v196 offset:12800
	ds_load_b128 v[168:171], v196 offset:20800
	v_add_co_u32 v193, s0, s8, v196
	s_wait_alu 0xf1ff
	v_add_co_ci_u32_e64 v194, null, s9, 0, s0
	s_and_saveexec_b32 s0, vcc_lo
	s_cbranch_execz .LBB0_3
; %bb.2:
	ds_load_b128 v[152:155], v196 offset:7200
	ds_load_b128 v[184:187], v196 offset:15200
	;; [unrolled: 1-line block ×3, first 2 shown]
.LBB0_3:
	s_wait_alu 0xfffe
	s_or_b32 exec_lo, exec_lo, s0
	v_add_co_u32 v40, s0, 0x1c2, v195
	s_wait_alu 0xf1ff
	v_add_co_ci_u32_e64 v42, null, 0, 0, s0
	v_add_co_u32 v44, s0, 0xffffffce, v195
	s_wait_alu 0xf1ff
	v_add_co_ci_u32_e64 v43, null, 0, -1, s0
	v_lshlrev_b32_e32 v45, 5, v41
	s_delay_alu instid0(VALU_DEP_2)
	v_dual_cndmask_b32 v43, v43, v42 :: v_dual_cndmask_b32 v42, v44, v40
	v_lshlrev_b32_e32 v44, 5, v195
	s_clause 0x3
	global_load_b128 v[124:127], v44, s[10:11] offset:7936
	global_load_b128 v[140:143], v44, s[10:11] offset:7920
	;; [unrolled: 1-line block ×4, first 2 shown]
	v_lshlrev_b64_e32 v[40:41], 5, v[42:43]
	v_add_nc_u32_e32 v42, 0x2580, v44
	s_delay_alu instid0(VALU_DEP_2) | instskip(SKIP_1) | instid1(VALU_DEP_3)
	v_add_co_u32 v40, s0, s10, v40
	s_wait_alu 0xf1ff
	v_add_co_ci_u32_e64 v41, s0, s11, v41, s0
	s_clause 0x3
	global_load_b128 v[136:139], v42, s[10:11] offset:7920
	global_load_b128 v[132:135], v42, s[10:11] offset:7936
	global_load_b128 v[44:47], v[40:41], off offset:7920
	global_load_b128 v[40:43], v[40:41], off offset:7936
	s_mov_b32 s0, 0xe8584caa
	s_mov_b32 s1, 0x3febb67a
	s_mov_b32 s11, 0xbfebb67a
	s_wait_alu 0xfffe
	s_mov_b32 s10, s0
	s_wait_loadcnt_dscnt 0x706
	v_mul_f64_e32 v[203:204], v[174:175], v[126:127]
	s_wait_loadcnt_dscnt 0x604
	v_mul_f64_e32 v[201:202], v[182:183], v[142:143]
	v_mul_f64_e32 v[205:206], v[180:181], v[142:143]
	;; [unrolled: 1-line block ×3, first 2 shown]
	s_wait_loadcnt_dscnt 0x402
	v_mul_f64_e32 v[209:210], v[178:179], v[130:131]
	v_mul_f64_e32 v[211:212], v[162:163], v[122:123]
	;; [unrolled: 1-line block ×4, first 2 shown]
	s_wait_loadcnt_dscnt 0x301
	v_mul_f64_e32 v[217:218], v[166:167], v[138:139]
	s_wait_loadcnt_dscnt 0x200
	v_mul_f64_e32 v[219:220], v[170:171], v[134:135]
	v_mul_f64_e32 v[221:222], v[164:165], v[138:139]
	s_wait_loadcnt 0x1
	v_mul_f64_e32 v[225:226], v[186:187], v[46:47]
	s_wait_loadcnt 0x0
	v_mul_f64_e32 v[227:228], v[190:191], v[42:43]
	v_mul_f64_e32 v[229:230], v[184:185], v[46:47]
	;; [unrolled: 1-line block ×4, first 2 shown]
	v_fma_f64 v[172:173], v[172:173], v[124:125], -v[203:204]
	v_fma_f64 v[180:181], v[180:181], v[140:141], -v[201:202]
	v_fma_f64 v[182:183], v[182:183], v[140:141], v[205:206]
	v_fma_f64 v[174:175], v[174:175], v[124:125], v[207:208]
	v_fma_f64 v[176:177], v[176:177], v[128:129], -v[209:210]
	v_fma_f64 v[201:202], v[160:161], v[120:121], -v[211:212]
	v_fma_f64 v[178:179], v[178:179], v[128:129], v[213:214]
	v_fma_f64 v[203:204], v[162:163], v[120:121], v[215:216]
	v_fma_f64 v[205:206], v[164:165], v[136:137], -v[217:218]
	v_fma_f64 v[207:208], v[168:169], v[132:133], -v[219:220]
	v_fma_f64 v[168:169], v[166:167], v[136:137], v[221:222]
	v_fma_f64 v[162:163], v[184:185], v[44:45], -v[225:226]
	v_fma_f64 v[160:161], v[188:189], v[40:41], -v[227:228]
	v_fma_f64 v[166:167], v[186:187], v[44:45], v[229:230]
	v_fma_f64 v[164:165], v[190:191], v[40:41], v[231:232]
	;; [unrolled: 1-line block ×3, first 2 shown]
	v_add_f64_e32 v[170:171], v[180:181], v[172:173]
	v_add_f64_e32 v[217:218], v[148:149], v[180:181]
	;; [unrolled: 1-line block ×3, first 2 shown]
	v_add_f64_e64 v[219:220], v[182:183], -v[174:175]
	v_add_f64_e32 v[186:187], v[176:177], v[201:202]
	v_add_f64_e32 v[182:183], v[150:151], v[182:183]
	;; [unrolled: 1-line block ×5, first 2 shown]
	v_add_f64_e64 v[229:230], v[180:181], -v[172:173]
	v_add_f64_e64 v[231:232], v[178:179], -v[203:204]
	;; [unrolled: 1-line block ×3, first 2 shown]
	v_add_f64_e32 v[190:191], v[205:206], v[207:208]
	v_add_f64_e32 v[225:226], v[156:157], v[205:206]
	;; [unrolled: 1-line block ×4, first 2 shown]
	v_add_f64_e64 v[243:244], v[162:163], -v[160:161]
	v_add_f64_e32 v[215:216], v[166:167], v[164:165]
	v_add_f64_e32 v[211:212], v[168:169], v[209:210]
	v_add_f64_e64 v[241:242], v[166:167], -v[164:165]
	v_add_f64_e64 v[235:236], v[168:169], -v[209:210]
	;; [unrolled: 1-line block ×3, first 2 shown]
	v_fma_f64 v[148:149], v[170:171], -0.5, v[148:149]
	v_fma_f64 v[150:151], v[184:185], -0.5, v[150:151]
	;; [unrolled: 1-line block ×4, first 2 shown]
	v_add_f64_e32 v[168:169], v[221:222], v[201:202]
	v_add_f64_e32 v[170:171], v[223:224], v[203:204]
	v_fma_f64 v[237:238], v[190:191], -0.5, v[156:157]
	v_add_f64_e32 v[156:157], v[217:218], v[172:173]
	v_add_f64_e32 v[172:173], v[225:226], v[207:208]
	v_fma_f64 v[213:214], v[213:214], -0.5, v[152:153]
	v_fma_f64 v[215:216], v[215:216], -0.5, v[154:155]
	;; [unrolled: 1-line block ×3, first 2 shown]
	v_add_f64_e32 v[158:159], v[182:183], v[174:175]
	v_add_f64_e32 v[174:175], v[227:228], v[209:210]
	v_fma_f64 v[176:177], v[219:220], s[0:1], v[148:149]
	s_wait_alu 0xfffe
	v_fma_f64 v[180:181], v[219:220], s[10:11], v[148:149]
	v_fma_f64 v[178:179], v[229:230], s[10:11], v[150:151]
	v_fma_f64 v[182:183], v[229:230], s[0:1], v[150:151]
	v_fma_f64 v[184:185], v[231:232], s[0:1], v[144:145]
	v_fma_f64 v[188:189], v[231:232], s[10:11], v[144:145]
	v_fma_f64 v[186:187], v[233:234], s[10:11], v[146:147]
	v_fma_f64 v[190:191], v[233:234], s[0:1], v[146:147]
	v_fma_f64 v[201:202], v[235:236], s[0:1], v[237:238]
	v_fma_f64 v[205:206], v[235:236], s[10:11], v[237:238]
	v_fma_f64 v[144:145], v[241:242], s[0:1], v[213:214]
	v_fma_f64 v[148:149], v[241:242], s[10:11], v[213:214]
	v_fma_f64 v[146:147], v[243:244], s[10:11], v[215:216]
	v_fma_f64 v[150:151], v[243:244], s[0:1], v[215:216]
	v_fma_f64 v[203:204], v[239:240], s[10:11], v[211:212]
	v_fma_f64 v[207:208], v[239:240], s[0:1], v[211:212]
	ds_store_b128 v196, v[156:159]
	ds_store_b128 v196, v[168:171] offset:2400
	ds_store_b128 v196, v[180:183] offset:16000
	;; [unrolled: 1-line block ×8, first 2 shown]
	s_and_saveexec_b32 s0, vcc_lo
	s_cbranch_execz .LBB0_5
; %bb.4:
	v_add_f64_e32 v[154:155], v[154:155], v[166:167]
	v_add_f64_e32 v[152:153], v[152:153], v[162:163]
	s_delay_alu instid0(VALU_DEP_2) | instskip(NEXT) | instid1(VALU_DEP_2)
	v_add_f64_e32 v[154:155], v[154:155], v[164:165]
	v_add_f64_e32 v[152:153], v[152:153], v[160:161]
	ds_store_b128 v196, v[152:155] offset:7200
	ds_store_b128 v196, v[144:147] offset:15200
	;; [unrolled: 1-line block ×3, first 2 shown]
.LBB0_5:
	s_wait_alu 0xfffe
	s_or_b32 exec_lo, exec_lo, s0
	global_wb scope:SCOPE_SE
	s_wait_dscnt 0x0
	s_barrier_signal -1
	s_barrier_wait -1
	global_inv scope:SCOPE_SE
	global_load_b128 v[152:155], v[193:194], off offset:24000
	ds_load_b128 v[156:159], v196
	ds_load_b128 v[160:163], v196 offset:2400
	v_lshlrev_b32_e32 v193, 4, v195
	s_add_nc_u64 s[0:1], s[8:9], 0x5dc0
	s_mov_b32 s10, 0x134454ff
	s_mov_b32 s11, 0xbfee6f0e
	;; [unrolled: 1-line block ×3, first 2 shown]
	s_wait_alu 0xfffe
	s_mov_b32 s14, s10
	s_mov_b32 s8, 0x4755a5e
	;; [unrolled: 1-line block ×6, first 2 shown]
	s_wait_alu 0xfffe
	s_mov_b32 s18, s12
	s_mov_b32 s16, 0x9b97f4a8
	;; [unrolled: 1-line block ×4, first 2 shown]
	s_wait_alu 0xfffe
	s_mov_b32 s20, s16
	s_wait_loadcnt_dscnt 0x1
	v_mul_f64_e32 v[164:165], v[158:159], v[154:155]
	v_mul_f64_e32 v[166:167], v[156:157], v[154:155]
	s_delay_alu instid0(VALU_DEP_2) | instskip(NEXT) | instid1(VALU_DEP_2)
	v_fma_f64 v[154:155], v[156:157], v[152:153], -v[164:165]
	v_fma_f64 v[156:157], v[158:159], v[152:153], v[166:167]
	global_load_b128 v[164:167], v193, s[0:1] offset:4800
	ds_load_b128 v[168:171], v196 offset:4800
	ds_load_b128 v[172:175], v196 offset:7200
	s_clause 0x1
	global_load_b128 v[176:179], v193, s[0:1] offset:2400
	global_load_b128 v[180:183], v193, s[0:1] offset:9600
	ds_load_b128 v[184:187], v196 offset:9600
	ds_load_b128 v[188:191], v196 offset:12000
	s_clause 0x1
	global_load_b128 v[201:204], v193, s[0:1] offset:7200
	;; [unrolled: 5-line block ×3, first 2 shown]
	global_load_b128 v[221:224], v193, s[0:1] offset:19200
	global_load_b128 v[225:228], v193, s[0:1] offset:16800
	ds_load_b128 v[229:232], v196 offset:19200
	ds_load_b128 v[233:236], v196 offset:21600
	s_wait_loadcnt_dscnt 0x707
	v_mul_f64_e32 v[152:153], v[170:171], v[166:167]
	v_mul_f64_e32 v[158:159], v[168:169], v[166:167]
	s_delay_alu instid0(VALU_DEP_2) | instskip(SKIP_2) | instid1(VALU_DEP_3)
	v_fma_f64 v[166:167], v[168:169], v[164:165], -v[152:153]
	s_wait_loadcnt_dscnt 0x505
	v_mul_f64_e32 v[152:153], v[186:187], v[182:183]
	v_fma_f64 v[168:169], v[170:171], v[164:165], v[158:159]
	v_mul_f64_e32 v[158:159], v[184:185], v[182:183]
	v_mul_f64_e32 v[164:165], v[160:161], v[178:179]
	s_delay_alu instid0(VALU_DEP_4) | instskip(SKIP_2) | instid1(VALU_DEP_4)
	v_fma_f64 v[182:183], v[184:185], v[180:181], -v[152:153]
	s_wait_loadcnt_dscnt 0x303
	v_mul_f64_e32 v[152:153], v[211:212], v[207:208]
	v_fma_f64 v[184:185], v[186:187], v[180:181], v[158:159]
	v_mul_f64_e32 v[158:159], v[209:210], v[207:208]
	s_delay_alu instid0(VALU_DEP_3) | instskip(SKIP_2) | instid1(VALU_DEP_3)
	v_fma_f64 v[207:208], v[209:210], v[205:206], -v[152:153]
	s_wait_loadcnt_dscnt 0x101
	v_mul_f64_e32 v[152:153], v[231:232], v[223:224]
	v_fma_f64 v[209:210], v[211:212], v[205:206], v[158:159]
	v_mul_f64_e32 v[158:159], v[229:230], v[223:224]
	s_delay_alu instid0(VALU_DEP_3)
	v_fma_f64 v[229:230], v[229:230], v[221:222], -v[152:153]
	v_mul_f64_e32 v[152:153], v[162:163], v[178:179]
	global_load_b128 v[178:181], v193, s[0:1] offset:21600
	v_fma_f64 v[231:232], v[231:232], v[221:222], v[158:159]
	s_mov_b32 s1, 0x3fe2cf23
	s_mov_b32 s0, s8
	v_fma_f64 v[158:159], v[160:161], v[176:177], -v[152:153]
	v_mul_f64_e32 v[152:153], v[174:175], v[203:204]
	v_fma_f64 v[160:161], v[162:163], v[176:177], v[164:165]
	v_mul_f64_e32 v[164:165], v[172:173], v[203:204]
	s_wait_loadcnt 0x1
	v_mul_f64_e32 v[176:177], v[213:214], v[227:228]
	s_delay_alu instid0(VALU_DEP_4) | instskip(SKIP_4) | instid1(VALU_DEP_4)
	v_fma_f64 v[162:163], v[172:173], v[201:202], -v[152:153]
	v_mul_f64_e32 v[152:153], v[190:191], v[219:220]
	v_mul_f64_e32 v[172:173], v[188:189], v[219:220]
	v_fma_f64 v[164:165], v[174:175], v[201:202], v[164:165]
	v_fma_f64 v[176:177], v[215:216], v[225:226], v[176:177]
	v_fma_f64 v[170:171], v[188:189], v[217:218], -v[152:153]
	v_mul_f64_e32 v[152:153], v[215:216], v[227:228]
	v_fma_f64 v[172:173], v[190:191], v[217:218], v[172:173]
	s_delay_alu instid0(VALU_DEP_2) | instskip(SKIP_3) | instid1(VALU_DEP_2)
	v_fma_f64 v[174:175], v[213:214], v[225:226], -v[152:153]
	s_wait_loadcnt_dscnt 0x0
	v_mul_f64_e32 v[152:153], v[235:236], v[180:181]
	v_mul_f64_e32 v[180:181], v[233:234], v[180:181]
	v_fma_f64 v[186:187], v[233:234], v[178:179], -v[152:153]
	s_delay_alu instid0(VALU_DEP_2)
	v_fma_f64 v[188:189], v[235:236], v[178:179], v[180:181]
	ds_store_b128 v196, v[154:157]
	ds_store_b128 v196, v[158:161] offset:2400
	ds_store_b128 v196, v[166:169] offset:4800
	;; [unrolled: 1-line block ×9, first 2 shown]
	global_wb scope:SCOPE_SE
	s_wait_dscnt 0x0
	s_barrier_signal -1
	s_barrier_wait -1
	global_inv scope:SCOPE_SE
	ds_load_b128 v[152:155], v196
	ds_load_b128 v[156:159], v196 offset:4800
	ds_load_b128 v[160:163], v196 offset:7200
	;; [unrolled: 1-line block ×7, first 2 shown]
	s_wait_dscnt 0x6
	v_add_f64_e32 v[184:185], v[152:153], v[156:157]
	v_add_f64_e32 v[186:187], v[154:155], v[158:159]
	s_wait_dscnt 0x3
	v_add_f64_e32 v[188:189], v[156:157], v[168:169]
	v_add_f64_e32 v[190:191], v[158:159], v[170:171]
	v_add_f64_e64 v[193:194], v[158:159], -v[170:171]
	v_add_f64_e64 v[201:202], v[156:157], -v[168:169]
	s_wait_dscnt 0x1
	v_add_f64_e64 v[203:204], v[156:157], -v[176:177]
	v_add_f64_e64 v[205:206], v[176:177], -v[156:157]
	;; [unrolled: 1-line block ×6, first 2 shown]
	s_wait_dscnt 0x0
	v_add_f64_e64 v[231:232], v[160:161], -v[180:181]
	v_add_f64_e64 v[233:234], v[180:181], -v[160:161]
	;; [unrolled: 1-line block ×4, first 2 shown]
	v_add_f64_e32 v[211:212], v[184:185], v[176:177]
	v_add_f64_e32 v[213:214], v[186:187], v[178:179]
	ds_load_b128 v[156:159], v196 offset:14400
	ds_load_b128 v[184:187], v196 offset:16800
	global_wb scope:SCOPE_SE
	s_wait_dscnt 0x0
	s_barrier_signal -1
	s_barrier_wait -1
	global_inv scope:SCOPE_SE
	v_add_f64_e32 v[215:216], v[176:177], v[156:157]
	v_add_f64_e32 v[217:218], v[178:179], v[158:159]
	v_add_f64_e64 v[178:179], v[178:179], -v[158:159]
	v_add_f64_e64 v[176:177], v[176:177], -v[156:157]
	;; [unrolled: 1-line block ×6, first 2 shown]
	v_add_f64_e32 v[239:240], v[180:181], v[184:185]
	v_add_f64_e32 v[241:242], v[182:183], v[186:187]
	v_add_f64_e64 v[243:244], v[172:173], -v[184:185]
	v_add_f64_e64 v[245:246], v[174:175], -v[186:187]
	v_add_f64_e32 v[211:212], v[211:212], v[156:157]
	v_add_f64_e32 v[213:214], v[213:214], v[158:159]
	s_delay_alu instid0(VALU_DEP_2) | instskip(NEXT) | instid1(VALU_DEP_2)
	v_add_f64_e32 v[156:157], v[211:212], v[168:169]
	v_add_f64_e32 v[158:159], v[213:214], v[170:171]
	;; [unrolled: 1-line block ×6, first 2 shown]
	s_delay_alu instid0(VALU_DEP_4) | instskip(NEXT) | instid1(VALU_DEP_4)
	v_add_f64_e32 v[160:161], v[168:169], v[180:181]
	v_add_f64_e32 v[162:163], v[170:171], v[182:183]
	v_fma_f64 v[168:169], v[188:189], -0.5, v[152:153]
	v_fma_f64 v[170:171], v[190:191], -0.5, v[154:155]
	v_add_f64_e64 v[182:183], v[182:183], -v[186:187]
	v_add_f64_e64 v[180:181], v[180:181], -v[184:185]
	v_add_f64_e32 v[188:189], v[205:206], v[221:222]
	v_add_f64_e32 v[190:191], v[209:210], v[225:226]
	;; [unrolled: 1-line block ×4, first 2 shown]
	v_add_f64_e64 v[184:185], v[184:185], -v[172:173]
	v_add_f64_e64 v[186:187], v[186:187], -v[174:175]
	s_delay_alu instid0(VALU_DEP_4) | instskip(NEXT) | instid1(VALU_DEP_4)
	v_add_f64_e32 v[160:161], v[160:161], v[172:173]
	v_add_f64_e32 v[162:163], v[162:163], v[174:175]
	v_fma_f64 v[172:173], v[215:216], -0.5, v[152:153]
	v_fma_f64 v[174:175], v[217:218], -0.5, v[154:155]
	v_fma_f64 v[152:153], v[178:179], s[14:15], v[168:169]
	v_fma_f64 v[154:155], v[176:177], s[10:11], v[170:171]
	;; [unrolled: 1-line block ×4, first 2 shown]
	s_delay_alu instid0(VALU_DEP_4) | instskip(SKIP_1) | instid1(VALU_DEP_4)
	v_fma_f64 v[152:153], v[193:194], s[8:9], v[152:153]
	s_wait_alu 0xfffe
	v_fma_f64 v[154:155], v[201:202], s[0:1], v[154:155]
	s_delay_alu instid0(VALU_DEP_4) | instskip(NEXT) | instid1(VALU_DEP_4)
	v_fma_f64 v[168:169], v[193:194], s[0:1], v[168:169]
	v_fma_f64 v[170:171], v[201:202], s[8:9], v[170:171]
	s_delay_alu instid0(VALU_DEP_4) | instskip(NEXT) | instid1(VALU_DEP_4)
	v_fma_f64 v[152:153], v[188:189], s[12:13], v[152:153]
	;; [unrolled: 3-line block ×3, first 2 shown]
	v_fma_f64 v[170:171], v[190:191], s[12:13], v[170:171]
	v_fma_f64 v[188:189], v[193:194], s[10:11], v[172:173]
	v_fma_f64 v[190:191], v[201:202], s[14:15], v[174:175]
	v_fma_f64 v[172:173], v[193:194], s[14:15], v[172:173]
	v_fma_f64 v[174:175], v[201:202], s[10:11], v[174:175]
	v_add_f64_e32 v[193:194], v[203:204], v[219:220]
	v_add_f64_e32 v[201:202], v[207:208], v[223:224]
	v_fma_f64 v[188:189], v[178:179], s[8:9], v[188:189]
	v_fma_f64 v[190:191], v[176:177], s[0:1], v[190:191]
	v_fma_f64 v[178:179], v[178:179], s[0:1], v[172:173]
	v_fma_f64 v[203:204], v[176:177], s[8:9], v[174:175]
	s_delay_alu instid0(VALU_DEP_4) | instskip(NEXT) | instid1(VALU_DEP_4)
	v_fma_f64 v[172:173], v[193:194], s[12:13], v[188:189]
	v_fma_f64 v[174:175], v[201:202], s[12:13], v[190:191]
	s_delay_alu instid0(VALU_DEP_4) | instskip(NEXT) | instid1(VALU_DEP_4)
	v_fma_f64 v[176:177], v[193:194], s[12:13], v[178:179]
	v_fma_f64 v[178:179], v[201:202], s[12:13], v[203:204]
	ds_store_b128 v200, v[156:159]
	ds_store_b128 v200, v[172:175] offset:16
	ds_store_b128 v200, v[152:155] offset:32
	;; [unrolled: 1-line block ×4, first 2 shown]
	v_fma_f64 v[156:157], v[211:212], -0.5, v[164:165]
	v_fma_f64 v[158:159], v[213:214], -0.5, v[166:167]
	;; [unrolled: 1-line block ×4, first 2 shown]
	v_add_f64_e32 v[166:167], v[233:234], v[184:185]
	v_add_f64_e32 v[170:171], v[237:238], v[186:187]
	;; [unrolled: 1-line block ×4, first 2 shown]
	v_fma_f64 v[152:153], v[182:183], s[14:15], v[156:157]
	v_fma_f64 v[154:155], v[180:181], s[10:11], v[158:159]
	;; [unrolled: 1-line block ×4, first 2 shown]
	s_delay_alu instid0(VALU_DEP_4) | instskip(NEXT) | instid1(VALU_DEP_4)
	v_fma_f64 v[152:153], v[227:228], s[8:9], v[152:153]
	v_fma_f64 v[154:155], v[229:230], s[0:1], v[154:155]
	s_delay_alu instid0(VALU_DEP_4) | instskip(NEXT) | instid1(VALU_DEP_4)
	v_fma_f64 v[156:157], v[227:228], s[0:1], v[156:157]
	v_fma_f64 v[158:159], v[229:230], s[8:9], v[158:159]
	;; [unrolled: 3-line block ×4, first 2 shown]
	v_fma_f64 v[166:167], v[227:228], s[10:11], v[164:165]
	v_fma_f64 v[170:171], v[229:230], s[14:15], v[168:169]
	;; [unrolled: 1-line block ×4, first 2 shown]
	s_delay_alu instid0(VALU_DEP_4) | instskip(NEXT) | instid1(VALU_DEP_4)
	v_fma_f64 v[166:167], v[182:183], s[8:9], v[166:167]
	v_fma_f64 v[170:171], v[180:181], s[0:1], v[170:171]
	s_delay_alu instid0(VALU_DEP_4) | instskip(NEXT) | instid1(VALU_DEP_4)
	v_fma_f64 v[176:177], v[182:183], s[0:1], v[164:165]
	v_fma_f64 v[178:179], v[180:181], s[8:9], v[168:169]
	;; [unrolled: 3-line block ×4, first 2 shown]
	ds_store_b128 v199, v[160:163]
	ds_store_b128 v199, v[164:167] offset:16
	ds_store_b128 v199, v[152:155] offset:32
	;; [unrolled: 1-line block ×4, first 2 shown]
	global_wb scope:SCOPE_SE
	s_wait_dscnt 0x0
	s_barrier_signal -1
	s_barrier_wait -1
	global_inv scope:SCOPE_SE
	ds_load_b128 v[152:155], v196 offset:7200
	ds_load_b128 v[156:159], v196 offset:4800
	s_wait_dscnt 0x1
	v_mul_f64_e32 v[160:161], v[118:119], v[152:153]
	v_mul_f64_e32 v[118:119], v[118:119], v[154:155]
	s_delay_alu instid0(VALU_DEP_2) | instskip(NEXT) | instid1(VALU_DEP_2)
	v_fma_f64 v[160:161], v[116:117], v[154:155], -v[160:161]
	v_fma_f64 v[162:163], v[116:117], v[152:153], v[118:119]
	ds_load_b128 v[116:119], v196 offset:12000
	ds_load_b128 v[152:155], v196 offset:9600
	s_wait_dscnt 0x1
	v_mul_f64_e32 v[164:165], v[90:91], v[116:117]
	v_mul_f64_e32 v[90:91], v[90:91], v[118:119]
	s_delay_alu instid0(VALU_DEP_2) | instskip(NEXT) | instid1(VALU_DEP_2)
	v_fma_f64 v[164:165], v[88:89], v[118:119], -v[164:165]
	v_fma_f64 v[166:167], v[88:89], v[116:117], v[90:91]
	;; [unrolled: 8-line block ×3, first 2 shown]
	ds_load_b128 v[84:87], v196 offset:21600
	ds_load_b128 v[88:91], v196 offset:19200
	s_wait_dscnt 0x1
	v_mul_f64_e32 v[172:173], v[110:111], v[84:85]
	v_add_f64_e64 v[199:200], v[164:165], -v[168:169]
	v_add_f64_e64 v[190:191], v[166:167], -v[170:171]
	s_delay_alu instid0(VALU_DEP_3) | instskip(SKIP_1) | instid1(VALU_DEP_2)
	v_fma_f64 v[172:173], v[108:109], v[86:87], -v[172:173]
	v_mul_f64_e32 v[86:87], v[110:111], v[86:87]
	v_add_f64_e64 v[193:194], v[160:161], -v[172:173]
	s_delay_alu instid0(VALU_DEP_2) | instskip(SKIP_1) | instid1(VALU_DEP_2)
	v_fma_f64 v[108:109], v[108:109], v[84:85], v[86:87]
	v_mul_f64_e32 v[84:85], v[106:107], v[158:159]
	v_add_f64_e64 v[188:189], v[162:163], -v[108:109]
	s_delay_alu instid0(VALU_DEP_2) | instskip(SKIP_1) | instid1(VALU_DEP_1)
	v_fma_f64 v[110:111], v[104:105], v[156:157], v[84:85]
	v_mul_f64_e32 v[84:85], v[106:107], v[156:157]
	v_fma_f64 v[104:105], v[104:105], v[158:159], -v[84:85]
	v_mul_f64_e32 v[84:85], v[102:103], v[154:155]
	s_delay_alu instid0(VALU_DEP_1) | instskip(SKIP_1) | instid1(VALU_DEP_1)
	v_fma_f64 v[106:107], v[100:101], v[152:153], v[84:85]
	v_mul_f64_e32 v[84:85], v[102:103], v[152:153]
	v_fma_f64 v[100:101], v[100:101], v[154:155], -v[84:85]
	v_mul_f64_e32 v[84:85], v[98:99], v[118:119]
	s_delay_alu instid0(VALU_DEP_1) | instskip(SKIP_1) | instid1(VALU_DEP_2)
	v_fma_f64 v[102:103], v[96:97], v[116:117], v[84:85]
	v_mul_f64_e32 v[84:85], v[98:99], v[116:117]
	v_add_f64_e64 v[207:208], v[106:107], -v[102:103]
	s_delay_alu instid0(VALU_DEP_2) | instskip(SKIP_2) | instid1(VALU_DEP_2)
	v_fma_f64 v[96:97], v[96:97], v[118:119], -v[84:85]
	s_wait_dscnt 0x0
	v_mul_f64_e32 v[84:85], v[94:95], v[90:91]
	v_add_f64_e64 v[203:204], v[100:101], -v[96:97]
	s_delay_alu instid0(VALU_DEP_2) | instskip(SKIP_1) | instid1(VALU_DEP_2)
	v_fma_f64 v[98:99], v[92:93], v[88:89], v[84:85]
	v_mul_f64_e32 v[84:85], v[94:95], v[88:89]
	v_add_f64_e64 v[205:206], v[110:111], -v[98:99]
	s_delay_alu instid0(VALU_DEP_2)
	v_fma_f64 v[116:117], v[92:93], v[90:91], -v[84:85]
	ds_load_b128 v[84:87], v196 offset:2400
	ds_load_b128 v[88:91], v196
	global_wb scope:SCOPE_SE
	s_wait_dscnt 0x0
	s_barrier_signal -1
	s_barrier_wait -1
	global_inv scope:SCOPE_SE
	v_mul_f64_e32 v[92:93], v[70:71], v[84:85]
	v_mul_f64_e32 v[70:71], v[70:71], v[86:87]
	v_add_f64_e64 v[201:202], v[104:105], -v[116:117]
	s_delay_alu instid0(VALU_DEP_3) | instskip(NEXT) | instid1(VALU_DEP_3)
	v_fma_f64 v[118:119], v[68:69], v[86:87], -v[92:93]
	v_fma_f64 v[152:153], v[68:69], v[84:85], v[70:71]
	v_add_f64_e32 v[68:69], v[106:107], v[102:103]
	v_add_f64_e32 v[70:71], v[90:91], v[104:105]
	s_delay_alu instid0(VALU_DEP_4) | instskip(NEXT) | instid1(VALU_DEP_4)
	v_add_f64_e32 v[86:87], v[118:119], v[160:161]
	v_add_f64_e32 v[84:85], v[152:153], v[162:163]
	s_delay_alu instid0(VALU_DEP_4) | instskip(SKIP_4) | instid1(VALU_DEP_4)
	v_fma_f64 v[154:155], v[68:69], -0.5, v[88:89]
	v_add_f64_e32 v[68:69], v[110:111], v[98:99]
	v_add_f64_e32 v[70:71], v[70:71], v[100:101]
	;; [unrolled: 1-line block ×4, first 2 shown]
	v_fma_f64 v[156:157], v[68:69], -0.5, v[88:89]
	v_add_f64_e32 v[68:69], v[100:101], v[96:97]
	v_add_f64_e32 v[70:71], v[70:71], v[96:97]
	v_add_f64_e32 v[86:87], v[86:87], v[168:169]
	v_add_f64_e32 v[84:85], v[84:85], v[170:171]
	s_delay_alu instid0(VALU_DEP_4) | instskip(SKIP_1) | instid1(VALU_DEP_4)
	v_fma_f64 v[158:159], v[68:69], -0.5, v[90:91]
	v_add_f64_e32 v[68:69], v[104:105], v[116:117]
	v_add_f64_e32 v[86:87], v[86:87], v[172:173]
	s_delay_alu instid0(VALU_DEP_4) | instskip(NEXT) | instid1(VALU_DEP_3)
	v_add_f64_e32 v[84:85], v[84:85], v[108:109]
	v_fma_f64 v[174:175], v[68:69], -0.5, v[90:91]
	v_add_f64_e32 v[68:69], v[88:89], v[110:111]
	v_add_f64_e32 v[90:91], v[70:71], v[116:117]
	s_delay_alu instid0(VALU_DEP_2) | instskip(NEXT) | instid1(VALU_DEP_2)
	v_add_f64_e32 v[68:69], v[68:69], v[106:107]
	v_add_f64_e32 v[70:71], v[90:91], v[86:87]
	v_add_f64_e64 v[86:87], v[90:91], -v[86:87]
	v_add_f64_e64 v[90:91], v[172:173], -v[168:169]
	s_delay_alu instid0(VALU_DEP_4) | instskip(NEXT) | instid1(VALU_DEP_1)
	v_add_f64_e32 v[68:69], v[68:69], v[102:103]
	v_add_f64_e32 v[88:89], v[68:69], v[98:99]
	s_delay_alu instid0(VALU_DEP_1) | instskip(SKIP_2) | instid1(VALU_DEP_1)
	v_add_f64_e32 v[68:69], v[88:89], v[84:85]
	v_add_f64_e64 v[84:85], v[88:89], -v[84:85]
	v_add_f64_e64 v[88:89], v[160:161], -v[164:165]
	v_add_f64_e32 v[176:177], v[88:89], v[90:91]
	v_add_f64_e64 v[88:89], v[162:163], -v[166:167]
	v_add_f64_e64 v[90:91], v[108:109], -v[170:171]
	s_delay_alu instid0(VALU_DEP_1) | instskip(SKIP_4) | instid1(VALU_DEP_3)
	v_add_f64_e32 v[178:179], v[88:89], v[90:91]
	v_add_f64_e64 v[88:89], v[110:111], -v[106:107]
	v_add_f64_e64 v[90:91], v[98:99], -v[102:103]
	;; [unrolled: 1-line block ×4, first 2 shown]
	v_add_f64_e32 v[180:181], v[88:89], v[90:91]
	v_add_f64_e64 v[88:89], v[104:105], -v[100:101]
	v_add_f64_e64 v[90:91], v[116:117], -v[96:97]
	v_add_f64_e64 v[100:101], v[100:101], -v[104:105]
	v_add_f64_e64 v[96:97], v[96:97], -v[116:117]
	v_add_f64_e32 v[106:107], v[106:107], v[98:99]
	s_delay_alu instid0(VALU_DEP_4) | instskip(SKIP_4) | instid1(VALU_DEP_4)
	v_add_f64_e32 v[182:183], v[88:89], v[90:91]
	v_add_f64_e32 v[88:89], v[164:165], v[168:169]
	v_add_f64_e64 v[164:165], v[164:165], -v[160:161]
	v_add_f64_e32 v[160:161], v[160:161], v[172:173]
	v_add_f64_e64 v[168:169], v[168:169], -v[172:173]
	v_fma_f64 v[184:185], v[88:89], -0.5, v[118:119]
	v_add_f64_e32 v[88:89], v[166:167], v[170:171]
	v_add_f64_e64 v[166:167], v[166:167], -v[162:163]
	v_add_f64_e32 v[162:163], v[162:163], v[108:109]
	v_fma_f64 v[104:105], v[160:161], -0.5, v[118:119]
	v_add_f64_e32 v[118:119], v[100:101], v[96:97]
	v_add_f64_e64 v[108:109], v[170:171], -v[108:109]
	v_add_f64_e32 v[116:117], v[164:165], v[168:169]
	v_fma_f64 v[186:187], v[88:89], -0.5, v[152:153]
	v_fma_f64 v[88:89], v[188:189], s[14:15], v[184:185]
	v_fma_f64 v[110:111], v[162:163], -0.5, v[152:153]
	v_fma_f64 v[96:97], v[190:191], s[10:11], v[104:105]
	v_fma_f64 v[104:105], v[190:191], s[14:15], v[104:105]
	v_add_f64_e32 v[108:109], v[166:167], v[108:109]
	v_fma_f64 v[90:91], v[193:194], s[10:11], v[186:187]
	v_fma_f64 v[88:89], v[190:191], s[0:1], v[88:89]
	;; [unrolled: 1-line block ×13, first 2 shown]
	v_mul_f64_e32 v[92:93], s[8:9], v[88:89]
	v_fma_f64 v[98:99], v[108:109], s[12:13], v[98:99]
	v_mul_f64_e32 v[100:101], s[10:11], v[96:97]
	v_mul_f64_e32 v[96:97], s[12:13], v[96:97]
	v_fma_f64 v[108:109], v[108:109], s[12:13], v[110:111]
	v_fma_f64 v[110:111], v[203:204], s[10:11], v[156:157]
	v_mul_f64_e32 v[88:89], s[16:17], v[88:89]
	v_fma_f64 v[92:93], v[90:91], s[16:17], v[92:93]
	v_fma_f64 v[100:101], v[98:99], s[12:13], v[100:101]
	;; [unrolled: 1-line block ×19, first 2 shown]
	v_add_f64_e32 v[96:97], v[152:153], v[100:101]
	v_fma_f64 v[106:107], v[205:206], s[8:9], v[106:107]
	v_add_f64_e64 v[100:101], v[152:153], -v[100:101]
	v_add_f64_e32 v[98:99], v[160:161], v[102:103]
	v_add_f64_e32 v[88:89], v[209:210], v[92:93]
	;; [unrolled: 1-line block ×3, first 2 shown]
	v_add_f64_e64 v[92:93], v[209:210], -v[92:93]
	v_add_f64_e64 v[94:95], v[211:212], -v[94:95]
	;; [unrolled: 1-line block ×3, first 2 shown]
	v_fma_f64 v[116:117], v[118:119], s[12:13], v[106:107]
	v_mul_f64_e32 v[106:107], s[10:11], v[104:105]
	v_mul_f64_e32 v[104:105], s[18:19], v[104:105]
	s_delay_alu instid0(VALU_DEP_2) | instskip(NEXT) | instid1(VALU_DEP_2)
	v_fma_f64 v[118:119], v[108:109], s[18:19], v[106:107]
	v_fma_f64 v[152:153], v[108:109], s[14:15], v[104:105]
	s_delay_alu instid0(VALU_DEP_2) | instskip(NEXT) | instid1(VALU_DEP_2)
	v_add_f64_e32 v[104:105], v[110:111], v[118:119]
	v_add_f64_e32 v[106:107], v[116:117], v[152:153]
	v_add_f64_e64 v[108:109], v[110:111], -v[118:119]
	v_add_f64_e64 v[110:111], v[116:117], -v[152:153]
	v_fma_f64 v[116:117], v[188:189], s[10:11], v[184:185]
	v_fma_f64 v[118:119], v[193:194], s[14:15], v[186:187]
	;; [unrolled: 1-line block ×4, first 2 shown]
	s_delay_alu instid0(VALU_DEP_4) | instskip(NEXT) | instid1(VALU_DEP_4)
	v_fma_f64 v[116:117], v[190:191], s[8:9], v[116:117]
	v_fma_f64 v[118:119], v[199:200], s[0:1], v[118:119]
	s_delay_alu instid0(VALU_DEP_4) | instskip(NEXT) | instid1(VALU_DEP_4)
	v_fma_f64 v[152:153], v[203:204], s[0:1], v[152:153]
	v_fma_f64 v[154:155], v[207:208], s[8:9], v[154:155]
	;; [unrolled: 3-line block ×4, first 2 shown]
	s_delay_alu instid0(VALU_DEP_4) | instskip(SKIP_1) | instid1(VALU_DEP_2)
	v_mul_f64_e32 v[156:157], s[8:9], v[116:117]
	v_mul_f64_e32 v[116:117], s[20:21], v[116:117]
	v_fma_f64 v[156:157], v[118:119], s[20:21], v[156:157]
	s_delay_alu instid0(VALU_DEP_2) | instskip(NEXT) | instid1(VALU_DEP_2)
	v_fma_f64 v[158:159], v[118:119], s[0:1], v[116:117]
	v_add_f64_e32 v[116:117], v[152:153], v[156:157]
	s_delay_alu instid0(VALU_DEP_2)
	v_add_f64_e32 v[118:119], v[154:155], v[158:159]
	v_add_f64_e64 v[152:153], v[152:153], -v[156:157]
	v_add_f64_e64 v[154:155], v[154:155], -v[158:159]
	ds_store_b128 v198, v[68:71]
	ds_store_b128 v198, v[88:91] offset:80
	ds_store_b128 v198, v[96:99] offset:160
	ds_store_b128 v198, v[104:107] offset:240
	ds_store_b128 v198, v[84:87] offset:400
	ds_store_b128 v198, v[116:119] offset:320
	ds_store_b128 v198, v[92:95] offset:480
	ds_store_b128 v198, v[100:103] offset:560
	ds_store_b128 v198, v[108:111] offset:640
	ds_store_b128 v198, v[152:155] offset:720
	global_wb scope:SCOPE_SE
	s_wait_dscnt 0x0
	s_barrier_signal -1
	s_barrier_wait -1
	global_inv scope:SCOPE_SE
	ds_load_b128 v[68:71], v196 offset:7200
	ds_load_b128 v[84:87], v196 offset:4800
	s_wait_dscnt 0x1
	v_mul_f64_e32 v[88:89], v[114:115], v[68:69]
	s_delay_alu instid0(VALU_DEP_1) | instskip(SKIP_1) | instid1(VALU_DEP_1)
	v_fma_f64 v[92:93], v[112:113], v[70:71], -v[88:89]
	v_mul_f64_e32 v[70:71], v[114:115], v[70:71]
	v_fma_f64 v[94:95], v[112:113], v[68:69], v[70:71]
	ds_load_b128 v[68:71], v196 offset:12000
	ds_load_b128 v[88:91], v196 offset:9600
	s_wait_dscnt 0x1
	v_mul_f64_e32 v[96:97], v[58:59], v[68:69]
	v_mul_f64_e32 v[58:59], v[58:59], v[70:71]
	s_delay_alu instid0(VALU_DEP_2) | instskip(NEXT) | instid1(VALU_DEP_2)
	v_fma_f64 v[96:97], v[56:57], v[70:71], -v[96:97]
	v_fma_f64 v[98:99], v[56:57], v[68:69], v[58:59]
	ds_load_b128 v[56:59], v196 offset:16800
	ds_load_b128 v[68:71], v196 offset:14400
	s_wait_dscnt 0x1
	v_mul_f64_e32 v[100:101], v[54:55], v[56:57]
	v_mul_f64_e32 v[54:55], v[54:55], v[58:59]
	s_delay_alu instid0(VALU_DEP_2) | instskip(NEXT) | instid1(VALU_DEP_2)
	v_fma_f64 v[100:101], v[52:53], v[58:59], -v[100:101]
	v_fma_f64 v[102:103], v[52:53], v[56:57], v[54:55]
	ds_load_b128 v[52:55], v196 offset:21600
	ds_load_b128 v[56:59], v196 offset:19200
	s_wait_dscnt 0x1
	v_mul_f64_e32 v[104:105], v[82:83], v[52:53]
	v_add_f64_e64 v[158:159], v[96:97], -v[100:101]
	v_add_f64_e64 v[154:155], v[98:99], -v[102:103]
	s_delay_alu instid0(VALU_DEP_3) | instskip(SKIP_1) | instid1(VALU_DEP_2)
	v_fma_f64 v[104:105], v[80:81], v[54:55], -v[104:105]
	v_mul_f64_e32 v[54:55], v[82:83], v[54:55]
	v_add_f64_e64 v[156:157], v[92:93], -v[104:105]
	s_delay_alu instid0(VALU_DEP_2) | instskip(SKIP_1) | instid1(VALU_DEP_2)
	v_fma_f64 v[80:81], v[80:81], v[52:53], v[54:55]
	v_mul_f64_e32 v[52:53], v[78:79], v[86:87]
	v_add_f64_e64 v[152:153], v[94:95], -v[80:81]
	s_delay_alu instid0(VALU_DEP_2) | instskip(SKIP_1) | instid1(VALU_DEP_1)
	v_fma_f64 v[82:83], v[76:77], v[84:85], v[52:53]
	v_mul_f64_e32 v[52:53], v[78:79], v[84:85]
	v_fma_f64 v[76:77], v[76:77], v[86:87], -v[52:53]
	v_mul_f64_e32 v[52:53], v[74:75], v[90:91]
	s_delay_alu instid0(VALU_DEP_1) | instskip(SKIP_1) | instid1(VALU_DEP_1)
	v_fma_f64 v[78:79], v[72:73], v[88:89], v[52:53]
	v_mul_f64_e32 v[52:53], v[74:75], v[88:89]
	v_fma_f64 v[72:73], v[72:73], v[90:91], -v[52:53]
	v_mul_f64_e32 v[52:53], v[66:67], v[70:71]
	s_delay_alu instid0(VALU_DEP_1) | instskip(SKIP_1) | instid1(VALU_DEP_2)
	v_fma_f64 v[74:75], v[64:65], v[68:69], v[52:53]
	v_mul_f64_e32 v[52:53], v[66:67], v[68:69]
	v_add_f64_e64 v[166:167], v[78:79], -v[74:75]
	s_delay_alu instid0(VALU_DEP_2) | instskip(SKIP_2) | instid1(VALU_DEP_2)
	v_fma_f64 v[68:69], v[64:65], v[70:71], -v[52:53]
	s_wait_dscnt 0x0
	v_mul_f64_e32 v[52:53], v[62:63], v[58:59]
	v_add_f64_e64 v[162:163], v[72:73], -v[68:69]
	s_delay_alu instid0(VALU_DEP_2) | instskip(SKIP_1) | instid1(VALU_DEP_2)
	v_fma_f64 v[70:71], v[60:61], v[56:57], v[52:53]
	v_mul_f64_e32 v[52:53], v[62:63], v[56:57]
	v_add_f64_e64 v[164:165], v[82:83], -v[70:71]
	s_delay_alu instid0(VALU_DEP_2)
	v_fma_f64 v[84:85], v[60:61], v[58:59], -v[52:53]
	ds_load_b128 v[52:55], v196 offset:2400
	ds_load_b128 v[56:59], v196
	global_wb scope:SCOPE_SE
	s_wait_dscnt 0x0
	s_barrier_signal -1
	s_barrier_wait -1
	global_inv scope:SCOPE_SE
	v_mul_f64_e32 v[60:61], v[50:51], v[52:53]
	v_mul_f64_e32 v[50:51], v[50:51], v[54:55]
	v_add_f64_e64 v[160:161], v[76:77], -v[84:85]
	s_delay_alu instid0(VALU_DEP_3) | instskip(NEXT) | instid1(VALU_DEP_3)
	v_fma_f64 v[86:87], v[48:49], v[54:55], -v[60:61]
	v_fma_f64 v[48:49], v[48:49], v[52:53], v[50:51]
	v_add_f64_e32 v[52:53], v[82:83], v[70:71]
	v_add_f64_e32 v[50:51], v[78:79], v[74:75]
	;; [unrolled: 1-line block ×3, first 2 shown]
	s_delay_alu instid0(VALU_DEP_3) | instskip(SKIP_1) | instid1(VALU_DEP_4)
	v_fma_f64 v[88:89], v[52:53], -0.5, v[56:57]
	v_add_f64_e32 v[52:53], v[72:73], v[68:69]
	v_fma_f64 v[50:51], v[50:51], -0.5, v[56:57]
	s_delay_alu instid0(VALU_DEP_4) | instskip(NEXT) | instid1(VALU_DEP_3)
	v_add_f64_e32 v[54:55], v[54:55], v[72:73]
	v_fma_f64 v[90:91], v[52:53], -0.5, v[58:59]
	v_add_f64_e32 v[52:53], v[76:77], v[84:85]
	s_delay_alu instid0(VALU_DEP_3) | instskip(NEXT) | instid1(VALU_DEP_2)
	v_add_f64_e32 v[54:55], v[54:55], v[68:69]
	v_fma_f64 v[106:107], v[52:53], -0.5, v[58:59]
	v_add_f64_e32 v[52:53], v[56:57], v[82:83]
	v_add_f64_e32 v[56:57], v[48:49], v[94:95]
	;; [unrolled: 1-line block ×4, first 2 shown]
	s_delay_alu instid0(VALU_DEP_4) | instskip(NEXT) | instid1(VALU_DEP_4)
	v_add_f64_e32 v[52:53], v[52:53], v[78:79]
	v_add_f64_e32 v[56:57], v[56:57], v[98:99]
	s_delay_alu instid0(VALU_DEP_4) | instskip(NEXT) | instid1(VALU_DEP_3)
	v_add_f64_e32 v[58:59], v[58:59], v[96:97]
	v_add_f64_e32 v[52:53], v[52:53], v[74:75]
	s_delay_alu instid0(VALU_DEP_3) | instskip(NEXT) | instid1(VALU_DEP_3)
	v_add_f64_e32 v[56:57], v[56:57], v[102:103]
	v_add_f64_e32 v[58:59], v[58:59], v[100:101]
	s_delay_alu instid0(VALU_DEP_3) | instskip(NEXT) | instid1(VALU_DEP_3)
	v_add_f64_e32 v[60:61], v[52:53], v[70:71]
	v_add_f64_e32 v[56:57], v[56:57], v[80:81]
	s_delay_alu instid0(VALU_DEP_3) | instskip(NEXT) | instid1(VALU_DEP_2)
	v_add_f64_e32 v[58:59], v[58:59], v[104:105]
	v_add_f64_e32 v[52:53], v[60:61], v[56:57]
	s_delay_alu instid0(VALU_DEP_2) | instskip(SKIP_4) | instid1(VALU_DEP_1)
	v_add_f64_e32 v[54:55], v[62:63], v[58:59]
	v_add_f64_e64 v[56:57], v[60:61], -v[56:57]
	v_add_f64_e64 v[58:59], v[62:63], -v[58:59]
	;; [unrolled: 1-line block ×4, first 2 shown]
	v_add_f64_e32 v[108:109], v[60:61], v[62:63]
	v_add_f64_e64 v[60:61], v[94:95], -v[98:99]
	v_add_f64_e64 v[62:63], v[80:81], -v[102:103]
	s_delay_alu instid0(VALU_DEP_1) | instskip(SKIP_4) | instid1(VALU_DEP_3)
	v_add_f64_e32 v[110:111], v[60:61], v[62:63]
	v_add_f64_e64 v[60:61], v[82:83], -v[78:79]
	v_add_f64_e64 v[62:63], v[70:71], -v[74:75]
	;; [unrolled: 1-line block ×4, first 2 shown]
	v_add_f64_e32 v[112:113], v[60:61], v[62:63]
	v_add_f64_e64 v[60:61], v[76:77], -v[72:73]
	v_add_f64_e64 v[62:63], v[84:85], -v[68:69]
	;; [unrolled: 1-line block ×4, first 2 shown]
	v_add_f64_e32 v[78:79], v[78:79], v[70:71]
	s_delay_alu instid0(VALU_DEP_4)
	v_add_f64_e32 v[114:115], v[60:61], v[62:63]
	v_add_f64_e32 v[60:61], v[96:97], v[100:101]
	v_add_f64_e64 v[96:97], v[96:97], -v[92:93]
	v_add_f64_e32 v[92:93], v[92:93], v[104:105]
	v_add_f64_e64 v[100:101], v[100:101], -v[104:105]
	v_add_f64_e32 v[84:85], v[72:73], v[68:69]
	v_fma_f64 v[116:117], v[60:61], -0.5, v[86:87]
	v_add_f64_e32 v[60:61], v[98:99], v[102:103]
	v_add_f64_e64 v[98:99], v[98:99], -v[94:95]
	v_add_f64_e32 v[94:95], v[94:95], v[80:81]
	v_fma_f64 v[76:77], v[92:93], -0.5, v[86:87]
	v_add_f64_e64 v[80:81], v[102:103], -v[80:81]
	v_add_f64_e32 v[82:83], v[96:97], v[100:101]
	v_fma_f64 v[118:119], v[60:61], -0.5, v[48:49]
	v_fma_f64 v[60:61], v[152:153], s[14:15], v[116:117]
	v_fma_f64 v[48:49], v[94:95], -0.5, v[48:49]
	v_fma_f64 v[68:69], v[154:155], s[10:11], v[76:77]
	v_add_f64_e32 v[80:81], v[98:99], v[80:81]
	v_fma_f64 v[76:77], v[154:155], s[14:15], v[76:77]
	v_fma_f64 v[62:63], v[156:157], s[10:11], v[118:119]
	;; [unrolled: 1-line block ×14, first 2 shown]
	v_mul_f64_e32 v[64:65], s[8:9], v[60:61]
	v_fma_f64 v[70:71], v[80:81], s[12:13], v[70:71]
	v_mul_f64_e32 v[72:73], s[10:11], v[68:69]
	v_mul_f64_e32 v[68:69], s[12:13], v[68:69]
	v_fma_f64 v[48:49], v[80:81], s[12:13], v[48:49]
	v_fma_f64 v[80:81], v[162:163], s[10:11], v[88:89]
	v_mul_f64_e32 v[60:61], s[16:17], v[60:61]
	v_fma_f64 v[64:65], v[62:63], s[16:17], v[64:65]
	v_fma_f64 v[72:73], v[70:71], s[12:13], v[72:73]
	;; [unrolled: 1-line block ×22, first 2 shown]
	v_add_f64_e32 v[68:69], v[86:87], v[72:73]
	v_fma_f64 v[78:79], v[164:165], s[8:9], v[78:79]
	v_add_f64_e64 v[72:73], v[86:87], -v[72:73]
	v_fma_f64 v[86:87], v[164:165], s[10:11], v[90:91]
	v_add_f64_e32 v[70:71], v[92:93], v[74:75]
	v_add_f64_e64 v[74:75], v[92:93], -v[74:75]
	v_add_f64_e32 v[60:61], v[168:169], v[64:65]
	v_add_f64_e32 v[62:63], v[170:171], v[66:67]
	v_add_f64_e64 v[64:65], v[168:169], -v[64:65]
	v_add_f64_e64 v[66:67], v[170:171], -v[66:67]
	v_fma_f64 v[82:83], v[84:85], s[12:13], v[78:79]
	v_mul_f64_e32 v[78:79], s[10:11], v[76:77]
	v_mul_f64_e32 v[76:77], s[18:19], v[76:77]
	v_fma_f64 v[86:87], v[166:167], s[8:9], v[86:87]
	s_delay_alu instid0(VALU_DEP_3) | instskip(NEXT) | instid1(VALU_DEP_3)
	v_fma_f64 v[84:85], v[48:49], s[18:19], v[78:79]
	v_fma_f64 v[48:49], v[48:49], s[14:15], v[76:77]
	s_delay_alu instid0(VALU_DEP_3) | instskip(NEXT) | instid1(VALU_DEP_3)
	v_fma_f64 v[88:89], v[114:115], s[12:13], v[86:87]
	v_add_f64_e32 v[76:77], v[80:81], v[84:85]
	s_delay_alu instid0(VALU_DEP_3) | instskip(SKIP_4) | instid1(VALU_DEP_3)
	v_add_f64_e32 v[78:79], v[82:83], v[48:49]
	v_add_f64_e64 v[82:83], v[82:83], -v[48:49]
	v_fma_f64 v[48:49], v[152:153], s[10:11], v[116:117]
	v_add_f64_e64 v[80:81], v[80:81], -v[84:85]
	v_fma_f64 v[84:85], v[156:157], s[14:15], v[118:119]
	v_fma_f64 v[48:49], v[154:155], s[8:9], v[48:49]
	s_delay_alu instid0(VALU_DEP_2) | instskip(NEXT) | instid1(VALU_DEP_2)
	v_fma_f64 v[84:85], v[158:159], s[0:1], v[84:85]
	v_fma_f64 v[48:49], v[108:109], s[12:13], v[48:49]
	s_delay_alu instid0(VALU_DEP_2) | instskip(NEXT) | instid1(VALU_DEP_2)
	v_fma_f64 v[84:85], v[110:111], s[12:13], v[84:85]
	v_mul_f64_e32 v[86:87], s[8:9], v[48:49]
	v_mul_f64_e32 v[48:49], s[20:21], v[48:49]
	s_delay_alu instid0(VALU_DEP_2) | instskip(NEXT) | instid1(VALU_DEP_2)
	v_fma_f64 v[90:91], v[84:85], s[20:21], v[86:87]
	v_fma_f64 v[92:93], v[84:85], s[0:1], v[48:49]
	s_delay_alu instid0(VALU_DEP_2) | instskip(NEXT) | instid1(VALU_DEP_2)
	v_add_f64_e32 v[84:85], v[50:51], v[90:91]
	v_add_f64_e32 v[86:87], v[88:89], v[92:93]
	v_add_f64_e64 v[48:49], v[50:51], -v[90:91]
	v_add_f64_e64 v[50:51], v[88:89], -v[92:93]
	ds_store_b128 v197, v[52:55]
	ds_store_b128 v197, v[60:63] offset:800
	ds_store_b128 v197, v[68:71] offset:1600
	;; [unrolled: 1-line block ×9, first 2 shown]
	global_wb scope:SCOPE_SE
	s_wait_dscnt 0x0
	s_barrier_signal -1
	s_barrier_wait -1
	global_inv scope:SCOPE_SE
	ds_load_b128 v[60:63], v196
	ds_load_b128 v[52:55], v196 offset:2400
	ds_load_b128 v[76:79], v196 offset:16000
	;; [unrolled: 1-line block ×8, first 2 shown]
	s_and_saveexec_b32 s0, vcc_lo
	s_cbranch_execz .LBB0_7
; %bb.6:
	ds_load_b128 v[48:51], v196 offset:7200
	ds_load_b128 v[144:147], v196 offset:15200
	ds_load_b128 v[148:151], v196 offset:23200
.LBB0_7:
	s_wait_alu 0xfffe
	s_or_b32 exec_lo, exec_lo, s0
	s_wait_dscnt 0x4
	v_mul_f64_e32 v[88:89], v[142:143], v[86:87]
	v_mul_f64_e32 v[90:91], v[126:127], v[78:79]
	;; [unrolled: 1-line block ×4, first 2 shown]
	s_wait_dscnt 0x2
	v_mul_f64_e32 v[96:97], v[130:131], v[82:83]
	v_mul_f64_e32 v[98:99], v[122:123], v[66:67]
	;; [unrolled: 1-line block ×4, first 2 shown]
	s_wait_dscnt 0x1
	v_mul_f64_e32 v[104:105], v[138:139], v[70:71]
	s_wait_dscnt 0x0
	v_mul_f64_e32 v[106:107], v[134:135], v[74:75]
	v_mul_f64_e32 v[108:109], v[138:139], v[68:69]
	;; [unrolled: 1-line block ×3, first 2 shown]
	s_mov_b32 s0, 0xe8584caa
	s_mov_b32 s1, 0xbfebb67a
	;; [unrolled: 1-line block ×3, first 2 shown]
	s_wait_alu 0xfffe
	s_mov_b32 s8, s0
	v_fma_f64 v[84:85], v[140:141], v[84:85], v[88:89]
	v_fma_f64 v[76:77], v[124:125], v[76:77], v[90:91]
	v_fma_f64 v[86:87], v[140:141], v[86:87], -v[92:93]
	v_fma_f64 v[78:79], v[124:125], v[78:79], -v[94:95]
	v_fma_f64 v[80:81], v[128:129], v[80:81], v[96:97]
	v_fma_f64 v[64:65], v[120:121], v[64:65], v[98:99]
	v_fma_f64 v[82:83], v[128:129], v[82:83], -v[100:101]
	v_fma_f64 v[66:67], v[120:121], v[66:67], -v[102:103]
	;; [unrolled: 4-line block ×3, first 2 shown]
	v_add_f64_e32 v[100:101], v[60:61], v[84:85]
	v_add_f64_e32 v[88:89], v[84:85], v[76:77]
	v_add_f64_e64 v[84:85], v[84:85], -v[76:77]
	v_add_f64_e32 v[90:91], v[86:87], v[78:79]
	v_add_f64_e64 v[102:103], v[86:87], -v[78:79]
	v_add_f64_e32 v[92:93], v[80:81], v[64:65]
	v_add_f64_e32 v[86:87], v[62:63], v[86:87]
	;; [unrolled: 1-line block ×7, first 2 shown]
	v_add_f64_e64 v[82:83], v[82:83], -v[66:67]
	v_add_f64_e64 v[80:81], v[80:81], -v[64:65]
	v_add_f64_e32 v[108:109], v[56:57], v[68:69]
	v_add_f64_e32 v[110:111], v[58:59], v[70:71]
	v_add_f64_e64 v[112:113], v[70:71], -v[74:75]
	v_add_f64_e64 v[114:115], v[68:69], -v[72:73]
	v_fma_f64 v[88:89], v[88:89], -0.5, v[60:61]
	v_fma_f64 v[90:91], v[90:91], -0.5, v[62:63]
	v_fma_f64 v[92:93], v[92:93], -0.5, v[52:53]
	v_add_f64_e32 v[52:53], v[100:101], v[76:77]
	v_fma_f64 v[94:95], v[94:95], -0.5, v[54:55]
	v_add_f64_e32 v[54:55], v[86:87], v[78:79]
	v_fma_f64 v[96:97], v[96:97], -0.5, v[56:57]
	;; [unrolled: 2-line block ×3, first 2 shown]
	v_add_f64_e32 v[58:59], v[106:107], v[66:67]
	v_add_f64_e32 v[60:61], v[108:109], v[72:73]
	;; [unrolled: 1-line block ×3, first 2 shown]
	s_wait_alu 0xfffe
	v_fma_f64 v[68:69], v[102:103], s[8:9], v[88:89]
	v_fma_f64 v[64:65], v[102:103], s[0:1], v[88:89]
	;; [unrolled: 1-line block ×12, first 2 shown]
	ds_store_b128 v196, v[52:55]
	ds_store_b128 v196, v[56:59] offset:2400
	ds_store_b128 v196, v[68:71] offset:16000
	;; [unrolled: 1-line block ×8, first 2 shown]
	s_and_saveexec_b32 s10, vcc_lo
	s_cbranch_execz .LBB0_9
; %bb.8:
	v_mul_f64_e32 v[52:53], v[46:47], v[144:145]
	v_mul_f64_e32 v[54:55], v[42:43], v[148:149]
	;; [unrolled: 1-line block ×4, first 2 shown]
	s_delay_alu instid0(VALU_DEP_4) | instskip(NEXT) | instid1(VALU_DEP_4)
	v_fma_f64 v[52:53], v[44:45], v[146:147], -v[52:53]
	v_fma_f64 v[54:55], v[40:41], v[150:151], -v[54:55]
	s_delay_alu instid0(VALU_DEP_4) | instskip(NEXT) | instid1(VALU_DEP_4)
	v_fma_f64 v[44:45], v[44:45], v[144:145], v[46:47]
	v_fma_f64 v[40:41], v[40:41], v[148:149], v[42:43]
	s_delay_alu instid0(VALU_DEP_4) | instskip(NEXT) | instid1(VALU_DEP_4)
	v_add_f64_e32 v[58:59], v[50:51], v[52:53]
	v_add_f64_e32 v[42:43], v[52:53], v[54:55]
	v_add_f64_e64 v[52:53], v[52:53], -v[54:55]
	s_delay_alu instid0(VALU_DEP_4)
	v_add_f64_e32 v[46:47], v[44:45], v[40:41]
	v_add_f64_e64 v[56:57], v[44:45], -v[40:41]
	v_add_f64_e32 v[44:45], v[48:49], v[44:45]
	v_fma_f64 v[50:51], v[42:43], -0.5, v[50:51]
	v_add_f64_e32 v[42:43], v[58:59], v[54:55]
	v_fma_f64 v[60:61], v[46:47], -0.5, v[48:49]
	s_delay_alu instid0(VALU_DEP_4) | instskip(NEXT) | instid1(VALU_DEP_4)
	v_add_f64_e32 v[40:41], v[44:45], v[40:41]
	v_fma_f64 v[46:47], v[56:57], s[0:1], v[50:51]
	v_fma_f64 v[50:51], v[56:57], s[8:9], v[50:51]
	s_delay_alu instid0(VALU_DEP_4)
	v_fma_f64 v[48:49], v[52:53], s[0:1], v[60:61]
	v_fma_f64 v[44:45], v[52:53], s[8:9], v[60:61]
	ds_store_b128 v196, v[40:43] offset:7200
	ds_store_b128 v196, v[48:51] offset:15200
	;; [unrolled: 1-line block ×3, first 2 shown]
.LBB0_9:
	s_wait_alu 0xfffe
	s_or_b32 exec_lo, exec_lo, s10
	global_wb scope:SCOPE_SE
	s_wait_dscnt 0x0
	s_barrier_signal -1
	s_barrier_wait -1
	global_inv scope:SCOPE_SE
	ds_load_b128 v[40:43], v196
	ds_load_b128 v[44:47], v196 offset:4800
	ds_load_b128 v[48:51], v196 offset:9600
	;; [unrolled: 1-line block ×9, first 2 shown]
	v_mad_co_u64_u32 v[80:81], null, s6, v192, 0
	v_mad_co_u64_u32 v[82:83], null, s4, v195, 0
	s_mul_u64 s[0:1], s[4:5], 0x12c0
	s_delay_alu instid0(VALU_DEP_1)
	v_mad_co_u64_u32 v[94:95], null, s7, v192, v[81:82]
	s_wait_dscnt 0x9
	v_mul_f64_e32 v[84:85], v[10:11], v[42:43]
	v_mul_f64_e32 v[10:11], v[10:11], v[40:41]
	s_wait_dscnt 0x8
	v_mul_f64_e32 v[86:87], v[18:19], v[46:47]
	v_mul_f64_e32 v[18:19], v[18:19], v[44:45]
	;; [unrolled: 3-line block ×9, first 2 shown]
	v_mov_b32_e32 v81, v94
	s_delay_alu instid0(VALU_DEP_1)
	v_lshlrev_b64_e32 v[80:81], 4, v[80:81]
	v_mad_co_u64_u32 v[95:96], null, s5, v195, v[83:84]
	v_mul_f64_e32 v[96:97], v[14:15], v[62:63]
	v_mul_f64_e32 v[14:15], v[14:15], v[60:61]
	v_fma_f64 v[40:41], v[8:9], v[40:41], v[84:85]
	v_fma_f64 v[8:9], v[8:9], v[42:43], -v[10:11]
	v_fma_f64 v[10:11], v[16:17], v[44:45], v[86:87]
	v_fma_f64 v[16:17], v[16:17], v[46:47], -v[18:19]
	;; [unrolled: 2-line block ×7, first 2 shown]
	v_fma_f64 v[34:35], v[32:33], v[74:75], -v[34:35]
	v_fma_f64 v[38:39], v[36:37], v[78:79], -v[38:39]
	v_mov_b32_e32 v83, v95
	v_add_co_u32 v0, vcc_lo, s2, v80
	s_wait_alu 0xfffd
	v_add_co_ci_u32_e32 v1, vcc_lo, s3, v81, vcc_lo
	s_delay_alu instid0(VALU_DEP_3) | instskip(SKIP_2) | instid1(VALU_DEP_1)
	v_lshlrev_b64_e32 v[82:83], 4, v[82:83]
	s_mov_b32 s2, 0xc3ece2a5
	s_mov_b32 s3, 0x3f45d867
	v_add_co_u32 v48, vcc_lo, v0, v82
	s_wait_alu 0xfffd
	s_delay_alu instid0(VALU_DEP_2) | instskip(SKIP_1) | instid1(VALU_DEP_2)
	v_add_co_ci_u32_e32 v49, vcc_lo, v1, v83, vcc_lo
	s_wait_alu 0xfffe
	v_add_co_u32 v64, vcc_lo, v48, s0
	s_wait_alu 0xfffd
	s_delay_alu instid0(VALU_DEP_2)
	v_add_co_ci_u32_e32 v65, vcc_lo, s1, v49, vcc_lo
	v_fma_f64 v[50:51], v[12:13], v[60:61], v[96:97]
	v_fma_f64 v[52:53], v[12:13], v[62:63], -v[14:15]
	v_fma_f64 v[60:61], v[32:33], v[72:73], v[102:103]
	v_fma_f64 v[62:63], v[36:37], v[76:77], v[104:105]
	v_add_co_u32 v66, vcc_lo, v64, s0
	v_mul_f64_e32 v[0:1], s[2:3], v[40:41]
	v_mul_f64_e32 v[2:3], s[2:3], v[8:9]
	v_mul_f64_e32 v[4:5], s[2:3], v[10:11]
	v_mul_f64_e32 v[6:7], s[2:3], v[16:17]
	s_wait_alu 0xfffd
	v_add_co_ci_u32_e32 v67, vcc_lo, s1, v65, vcc_lo
	v_mul_f64_e32 v[8:9], s[2:3], v[18:19]
	v_mul_f64_e32 v[10:11], s[2:3], v[24:25]
	;; [unrolled: 1-line block ×4, first 2 shown]
	v_add_co_u32 v40, vcc_lo, v66, s0
	s_wait_alu 0xfffd
	v_add_co_ci_u32_e32 v41, vcc_lo, s1, v67, vcc_lo
	v_mul_f64_e32 v[16:17], s[2:3], v[44:45]
	v_mul_f64_e32 v[18:19], s[2:3], v[46:47]
	;; [unrolled: 1-line block ×4, first 2 shown]
	v_add_co_u32 v42, vcc_lo, v40, s0
	v_mul_f64_e32 v[28:29], s[2:3], v[58:59]
	v_mul_f64_e32 v[30:31], s[2:3], v[30:31]
	;; [unrolled: 1-line block ×3, first 2 shown]
	s_wait_alu 0xfffd
	v_add_co_ci_u32_e32 v43, vcc_lo, s1, v41, vcc_lo
	v_mul_f64_e32 v[38:39], s[2:3], v[38:39]
	s_clause 0x3
	global_store_b128 v[48:49], v[0:3], off
	global_store_b128 v[64:65], v[4:7], off
	global_store_b128 v[66:67], v[8:11], off
	global_store_b128 v[40:41], v[12:15], off
	v_mul_f64_e32 v[20:21], s[2:3], v[50:51]
	v_mul_f64_e32 v[22:23], s[2:3], v[52:53]
	;; [unrolled: 1-line block ×4, first 2 shown]
	v_mad_co_u64_u32 v[44:45], null, 0xffffbe60, s4, v[42:43]
	s_mul_i32 s2, s5, 0xffffbe60
	s_wait_alu 0xfffe
	s_sub_co_i32 s2, s2, s4
	global_store_b128 v[42:43], v[16:19], off
	s_wait_alu 0xfffe
	v_add_nc_u32_e32 v45, s2, v45
	v_add_co_u32 v46, vcc_lo, v44, s0
	s_wait_alu 0xfffd
	s_delay_alu instid0(VALU_DEP_2) | instskip(NEXT) | instid1(VALU_DEP_2)
	v_add_co_ci_u32_e32 v47, vcc_lo, s1, v45, vcc_lo
	v_add_co_u32 v50, vcc_lo, v46, s0
	s_wait_alu 0xfffd
	s_delay_alu instid0(VALU_DEP_2) | instskip(NEXT) | instid1(VALU_DEP_2)
	v_add_co_ci_u32_e32 v51, vcc_lo, s1, v47, vcc_lo
	v_add_co_u32 v0, vcc_lo, v50, s0
	s_wait_alu 0xfffd
	s_delay_alu instid0(VALU_DEP_2) | instskip(NEXT) | instid1(VALU_DEP_2)
	v_add_co_ci_u32_e32 v1, vcc_lo, s1, v51, vcc_lo
	v_add_co_u32 v2, vcc_lo, v0, s0
	s_wait_alu 0xfffd
	s_delay_alu instid0(VALU_DEP_2)
	v_add_co_ci_u32_e32 v3, vcc_lo, s1, v1, vcc_lo
	global_store_b128 v[44:45], v[20:23], off
	global_store_b128 v[46:47], v[24:27], off
	;; [unrolled: 1-line block ×5, first 2 shown]
.LBB0_10:
	s_nop 0
	s_sendmsg sendmsg(MSG_DEALLOC_VGPRS)
	s_endpgm
	.section	.rodata,"a",@progbits
	.p2align	6, 0x0
	.amdhsa_kernel bluestein_single_fwd_len1500_dim1_dp_op_CI_CI
		.amdhsa_group_segment_fixed_size 24000
		.amdhsa_private_segment_fixed_size 0
		.amdhsa_kernarg_size 104
		.amdhsa_user_sgpr_count 2
		.amdhsa_user_sgpr_dispatch_ptr 0
		.amdhsa_user_sgpr_queue_ptr 0
		.amdhsa_user_sgpr_kernarg_segment_ptr 1
		.amdhsa_user_sgpr_dispatch_id 0
		.amdhsa_user_sgpr_private_segment_size 0
		.amdhsa_wavefront_size32 1
		.amdhsa_uses_dynamic_stack 0
		.amdhsa_enable_private_segment 0
		.amdhsa_system_sgpr_workgroup_id_x 1
		.amdhsa_system_sgpr_workgroup_id_y 0
		.amdhsa_system_sgpr_workgroup_id_z 0
		.amdhsa_system_sgpr_workgroup_info 0
		.amdhsa_system_vgpr_workitem_id 0
		.amdhsa_next_free_vgpr 247
		.amdhsa_next_free_sgpr 22
		.amdhsa_reserve_vcc 1
		.amdhsa_float_round_mode_32 0
		.amdhsa_float_round_mode_16_64 0
		.amdhsa_float_denorm_mode_32 3
		.amdhsa_float_denorm_mode_16_64 3
		.amdhsa_fp16_overflow 0
		.amdhsa_workgroup_processor_mode 1
		.amdhsa_memory_ordered 1
		.amdhsa_forward_progress 0
		.amdhsa_round_robin_scheduling 0
		.amdhsa_exception_fp_ieee_invalid_op 0
		.amdhsa_exception_fp_denorm_src 0
		.amdhsa_exception_fp_ieee_div_zero 0
		.amdhsa_exception_fp_ieee_overflow 0
		.amdhsa_exception_fp_ieee_underflow 0
		.amdhsa_exception_fp_ieee_inexact 0
		.amdhsa_exception_int_div_zero 0
	.end_amdhsa_kernel
	.text
.Lfunc_end0:
	.size	bluestein_single_fwd_len1500_dim1_dp_op_CI_CI, .Lfunc_end0-bluestein_single_fwd_len1500_dim1_dp_op_CI_CI
                                        ; -- End function
	.section	.AMDGPU.csdata,"",@progbits
; Kernel info:
; codeLenInByte = 13340
; NumSgprs: 24
; NumVgprs: 247
; ScratchSize: 0
; MemoryBound: 0
; FloatMode: 240
; IeeeMode: 1
; LDSByteSize: 24000 bytes/workgroup (compile time only)
; SGPRBlocks: 2
; VGPRBlocks: 30
; NumSGPRsForWavesPerEU: 24
; NumVGPRsForWavesPerEU: 247
; Occupancy: 5
; WaveLimiterHint : 1
; COMPUTE_PGM_RSRC2:SCRATCH_EN: 0
; COMPUTE_PGM_RSRC2:USER_SGPR: 2
; COMPUTE_PGM_RSRC2:TRAP_HANDLER: 0
; COMPUTE_PGM_RSRC2:TGID_X_EN: 1
; COMPUTE_PGM_RSRC2:TGID_Y_EN: 0
; COMPUTE_PGM_RSRC2:TGID_Z_EN: 0
; COMPUTE_PGM_RSRC2:TIDIG_COMP_CNT: 0
	.text
	.p2alignl 7, 3214868480
	.fill 96, 4, 3214868480
	.type	__hip_cuid_b80bf1c3bcee7048,@object ; @__hip_cuid_b80bf1c3bcee7048
	.section	.bss,"aw",@nobits
	.globl	__hip_cuid_b80bf1c3bcee7048
__hip_cuid_b80bf1c3bcee7048:
	.byte	0                               ; 0x0
	.size	__hip_cuid_b80bf1c3bcee7048, 1

	.ident	"AMD clang version 19.0.0git (https://github.com/RadeonOpenCompute/llvm-project roc-6.4.0 25133 c7fe45cf4b819c5991fe208aaa96edf142730f1d)"
	.section	".note.GNU-stack","",@progbits
	.addrsig
	.addrsig_sym __hip_cuid_b80bf1c3bcee7048
	.amdgpu_metadata
---
amdhsa.kernels:
  - .args:
      - .actual_access:  read_only
        .address_space:  global
        .offset:         0
        .size:           8
        .value_kind:     global_buffer
      - .actual_access:  read_only
        .address_space:  global
        .offset:         8
        .size:           8
        .value_kind:     global_buffer
      - .actual_access:  read_only
        .address_space:  global
        .offset:         16
        .size:           8
        .value_kind:     global_buffer
      - .actual_access:  read_only
        .address_space:  global
        .offset:         24
        .size:           8
        .value_kind:     global_buffer
      - .actual_access:  read_only
        .address_space:  global
        .offset:         32
        .size:           8
        .value_kind:     global_buffer
      - .offset:         40
        .size:           8
        .value_kind:     by_value
      - .address_space:  global
        .offset:         48
        .size:           8
        .value_kind:     global_buffer
      - .address_space:  global
        .offset:         56
        .size:           8
        .value_kind:     global_buffer
      - .address_space:  global
        .offset:         64
        .size:           8
        .value_kind:     global_buffer
      - .address_space:  global
        .offset:         72
        .size:           8
        .value_kind:     global_buffer
      - .offset:         80
        .size:           4
        .value_kind:     by_value
      - .address_space:  global
        .offset:         88
        .size:           8
        .value_kind:     global_buffer
      - .address_space:  global
        .offset:         96
        .size:           8
        .value_kind:     global_buffer
    .group_segment_fixed_size: 24000
    .kernarg_segment_align: 8
    .kernarg_segment_size: 104
    .language:       OpenCL C
    .language_version:
      - 2
      - 0
    .max_flat_workgroup_size: 150
    .name:           bluestein_single_fwd_len1500_dim1_dp_op_CI_CI
    .private_segment_fixed_size: 0
    .sgpr_count:     24
    .sgpr_spill_count: 0
    .symbol:         bluestein_single_fwd_len1500_dim1_dp_op_CI_CI.kd
    .uniform_work_group_size: 1
    .uses_dynamic_stack: false
    .vgpr_count:     247
    .vgpr_spill_count: 0
    .wavefront_size: 32
    .workgroup_processor_mode: 1
amdhsa.target:   amdgcn-amd-amdhsa--gfx1201
amdhsa.version:
  - 1
  - 2
...

	.end_amdgpu_metadata
